;; amdgpu-corpus repo=ROCm/rocFFT kind=compiled arch=gfx1201 opt=O3
	.text
	.amdgcn_target "amdgcn-amd-amdhsa--gfx1201"
	.amdhsa_code_object_version 6
	.protected	bluestein_single_back_len442_dim1_sp_op_CI_CI ; -- Begin function bluestein_single_back_len442_dim1_sp_op_CI_CI
	.globl	bluestein_single_back_len442_dim1_sp_op_CI_CI
	.p2align	8
	.type	bluestein_single_back_len442_dim1_sp_op_CI_CI,@function
bluestein_single_back_len442_dim1_sp_op_CI_CI: ; @bluestein_single_back_len442_dim1_sp_op_CI_CI
; %bb.0:
	s_load_b128 s[4:7], s[0:1], 0x28
	v_mul_u32_u24_e32 v1, 0x788, v0
	s_mov_b32 s2, exec_lo
	s_delay_alu instid0(VALU_DEP_1) | instskip(NEXT) | instid1(VALU_DEP_1)
	v_lshrrev_b32_e32 v1, 16, v1
	v_mad_co_u64_u32 v[56:57], null, ttmp9, 7, v[1:2]
	v_mov_b32_e32 v57, 0
                                        ; kill: def $vgpr2 killed $sgpr0 killed $exec
	s_wait_kmcnt 0x0
	s_delay_alu instid0(VALU_DEP_1)
	v_cmpx_gt_u64_e64 s[4:5], v[56:57]
	s_cbranch_execz .LBB0_23
; %bb.1:
	v_mul_hi_u32 v2, 0x24924925, v56
	v_mul_lo_u16 v1, v1, 34
	s_clause 0x1
	s_load_b64 s[12:13], s[0:1], 0x0
	s_load_b64 s[14:15], s[0:1], 0x38
	s_delay_alu instid0(VALU_DEP_1) | instskip(NEXT) | instid1(VALU_DEP_3)
	v_sub_nc_u16 v0, v0, v1
	v_sub_nc_u32_e32 v3, v56, v2
	s_delay_alu instid0(VALU_DEP_2) | instskip(SKIP_1) | instid1(VALU_DEP_3)
	v_and_b32_e32 v93, 0xffff, v0
	v_cmp_gt_u16_e32 vcc_lo, 26, v0
	v_lshrrev_b32_e32 v3, 1, v3
	s_delay_alu instid0(VALU_DEP_3) | instskip(SKIP_1) | instid1(VALU_DEP_3)
	v_lshlrev_b32_e32 v92, 3, v93
	v_or_b32_e32 v91, 0x1a0, v93
	v_add_nc_u32_e32 v2, v3, v2
	s_delay_alu instid0(VALU_DEP_1) | instskip(NEXT) | instid1(VALU_DEP_1)
	v_lshrrev_b32_e32 v2, 2, v2
	v_mul_lo_u32 v2, v2, 7
	s_delay_alu instid0(VALU_DEP_1) | instskip(NEXT) | instid1(VALU_DEP_1)
	v_sub_nc_u32_e32 v1, v56, v2
	v_mul_u32_u24_e32 v50, 0x1ba, v1
	s_delay_alu instid0(VALU_DEP_1)
	v_lshlrev_b32_e32 v94, 3, v50
	s_and_saveexec_b32 s3, vcc_lo
	s_cbranch_execz .LBB0_3
; %bb.2:
	s_load_b64 s[4:5], s[0:1], 0x18
	s_delay_alu instid0(VALU_DEP_1)
	v_lshl_add_u32 v73, v93, 3, v94
	s_wait_kmcnt 0x0
	s_load_b128 s[8:11], s[4:5], 0x0
	s_clause 0x7
	global_load_b64 v[4:5], v92, s[12:13]
	global_load_b64 v[6:7], v92, s[12:13] offset:208
	global_load_b64 v[8:9], v92, s[12:13] offset:416
	;; [unrolled: 1-line block ×7, first 2 shown]
	v_add_nc_u32_e32 v55, v94, v92
	s_delay_alu instid0(VALU_DEP_1) | instskip(SKIP_4) | instid1(VALU_DEP_1)
	v_add_nc_u32_e32 v74, 0x400, v55
	s_wait_kmcnt 0x0
	v_mad_co_u64_u32 v[0:1], null, s10, v56, 0
	v_mad_co_u64_u32 v[2:3], null, s8, v93, 0
	s_mul_u64 s[4:5], s[8:9], 0xd0
	v_mad_co_u64_u32 v[20:21], null, s11, v56, v[1:2]
	v_mad_co_u64_u32 v[21:22], null, s8, v91, 0
	s_delay_alu instid0(VALU_DEP_1) | instskip(NEXT) | instid1(VALU_DEP_1)
	v_dual_mov_b32 v1, v20 :: v_dual_mov_b32 v20, v22
	v_lshlrev_b64_e32 v[0:1], 3, v[0:1]
	s_wait_loadcnt 0x7
	v_mad_co_u64_u32 v[23:24], null, s9, v93, v[3:4]
	s_clause 0x6
	global_load_b64 v[24:25], v92, s[12:13] offset:1664
	global_load_b64 v[26:27], v92, s[12:13] offset:1872
	;; [unrolled: 1-line block ×7, first 2 shown]
	v_mov_b32_e32 v3, v23
	v_mad_co_u64_u32 v[22:23], null, s9, v91, v[20:21]
	v_add_co_u32 v23, s2, s6, v0
	s_delay_alu instid0(VALU_DEP_3) | instskip(SKIP_1) | instid1(VALU_DEP_2)
	v_lshlrev_b64_e32 v[2:3], 3, v[2:3]
	v_add_co_ci_u32_e64 v38, s2, s7, v1, s2
	v_add_co_u32 v0, s2, v23, v2
	s_wait_alu 0xf1ff
	s_delay_alu instid0(VALU_DEP_2)
	v_add_co_ci_u32_e64 v1, s2, v38, v3, s2
	v_lshlrev_b64_e32 v[2:3], 3, v[21:22]
	s_wait_alu 0xfffe
	v_add_co_u32 v20, s2, v0, s4
	s_wait_alu 0xf1ff
	v_add_co_ci_u32_e64 v21, s2, s5, v1, s2
	global_load_b64 v[0:1], v[0:1], off
	v_add_co_u32 v2, s2, v23, v2
	s_wait_alu 0xf1ff
	v_add_co_ci_u32_e64 v3, s2, v38, v3, s2
	v_add_co_u32 v22, s2, v20, s4
	s_wait_alu 0xf1ff
	v_add_co_ci_u32_e64 v23, s2, s5, v21, s2
	global_load_b64 v[2:3], v[2:3], off
	v_add_co_u32 v38, s2, v22, s4
	s_wait_alu 0xf1ff
	v_add_co_ci_u32_e64 v39, s2, s5, v23, s2
	s_delay_alu instid0(VALU_DEP_2) | instskip(SKIP_1) | instid1(VALU_DEP_2)
	v_add_co_u32 v40, s2, v38, s4
	s_wait_alu 0xf1ff
	v_add_co_ci_u32_e64 v41, s2, s5, v39, s2
	s_clause 0x2
	global_load_b64 v[20:21], v[20:21], off
	global_load_b64 v[22:23], v[22:23], off
	;; [unrolled: 1-line block ×3, first 2 shown]
	v_add_co_u32 v42, s2, v40, s4
	s_wait_alu 0xf1ff
	v_add_co_ci_u32_e64 v43, s2, s5, v41, s2
	global_load_b64 v[40:41], v[40:41], off
	v_add_co_u32 v44, s2, v42, s4
	s_wait_alu 0xf1ff
	v_add_co_ci_u32_e64 v45, s2, s5, v43, s2
	global_load_b64 v[42:43], v[42:43], off
	;; [unrolled: 4-line block ×11, first 2 shown]
	s_clause 0x1
	global_load_b64 v[67:68], v92, s[12:13] offset:2912
	global_load_b64 v[69:70], v92, s[12:13] offset:3120
	global_load_b64 v[65:66], v[65:66], off
	s_wait_loadcnt 0x12
	v_mul_f32_e32 v71, v1, v5
	v_dual_mul_f32 v72, v0, v5 :: v_dual_add_nc_u32 v75, 0x800, v55
	s_delay_alu instid0(VALU_DEP_2) | instskip(NEXT) | instid1(VALU_DEP_2)
	v_fmac_f32_e32 v71, v0, v4
	v_fma_f32 v72, v1, v4, -v72
	s_wait_loadcnt 0x11
	v_mul_f32_e32 v5, v3, v37
	s_wait_loadcnt 0x10
	v_dual_mul_f32 v37, v2, v37 :: v_dual_mul_f32 v0, v21, v7
	v_mul_f32_e32 v1, v20, v7
	s_delay_alu instid0(VALU_DEP_3)
	v_fmac_f32_e32 v5, v2, v36
	s_wait_loadcnt 0xf
	v_mul_f32_e32 v7, v23, v9
	v_mul_f32_e32 v2, v22, v9
	v_fmac_f32_e32 v0, v20, v6
	v_fma_f32 v1, v21, v6, -v1
	s_wait_loadcnt 0xe
	v_mul_f32_e32 v9, v39, v11
	v_fmac_f32_e32 v7, v22, v8
	v_fma_f32 v8, v23, v8, -v2
	v_mul_f32_e32 v4, v38, v11
	ds_store_b64 v73, v[71:72]
	s_wait_loadcnt 0xd
	v_mul_f32_e32 v6, v40, v13
	s_wait_loadcnt 0xc
	v_mul_f32_e32 v2, v42, v15
	ds_store_2addr_b64 v55, v[0:1], v[7:8] offset0:26 offset1:52
	s_wait_loadcnt 0xb
	v_mul_f32_e32 v0, v45, v17
	v_mul_f32_e32 v11, v41, v13
	v_fma_f32 v7, v43, v14, -v2
	s_delay_alu instid0(VALU_DEP_3) | instskip(SKIP_1) | instid1(VALU_DEP_3)
	v_fmac_f32_e32 v0, v44, v16
	s_wait_loadcnt 0xa
	v_dual_fmac_f32 v11, v40, v12 :: v_dual_mul_f32 v2, v46, v19
	v_fma_f32 v12, v41, v12, -v6
	v_mul_f32_e32 v6, v43, v15
	v_dual_mul_f32 v8, v47, v19 :: v_dual_mul_f32 v1, v44, v17
	s_delay_alu instid0(VALU_DEP_2) | instskip(NEXT) | instid1(VALU_DEP_2)
	v_fmac_f32_e32 v6, v42, v14
	v_fmac_f32_e32 v8, v46, v18
	;; [unrolled: 1-line block ×3, first 2 shown]
	v_fma_f32 v10, v39, v10, -v4
	s_wait_loadcnt 0x9
	v_mul_f32_e32 v4, v48, v25
	v_fma_f32 v1, v45, v16, -v1
	ds_store_2addr_b64 v55, v[9:10], v[11:12] offset0:78 offset1:104
	v_mul_f32_e32 v10, v49, v25
	v_fma_f32 v9, v47, v18, -v2
	ds_store_2addr_b64 v55, v[6:7], v[0:1] offset0:130 offset1:156
	s_wait_loadcnt 0x8
	v_mul_f32_e32 v1, v51, v27
	v_fma_f32 v11, v49, v24, -v4
	s_wait_loadcnt 0x7
	v_dual_fmac_f32 v10, v48, v24 :: v_dual_mul_f32 v7, v54, v29
	v_mul_f32_e32 v0, v52, v27
	v_mul_f32_e32 v2, v53, v29
	v_fma_f32 v1, v52, v26, -v1
	ds_store_2addr_b64 v55, v[8:9], v[10:11] offset0:182 offset1:208
	s_wait_loadcnt 0x6
	v_mul_f32_e32 v9, v58, v31
	v_dual_fmac_f32 v7, v53, v28 :: v_dual_fmac_f32 v0, v51, v26
	s_wait_loadcnt 0x5
	v_mul_f32_e32 v11, v60, v33
	v_fma_f32 v8, v54, v28, -v2
	v_mul_f32_e32 v2, v57, v31
	v_dual_mul_f32 v4, v59, v33 :: v_dual_fmac_f32 v9, v57, v30
	s_wait_loadcnt 0x4
	v_mul_f32_e32 v13, v62, v35
	v_fmac_f32_e32 v11, v59, v32
	v_fma_f32 v10, v58, v30, -v2
	v_fma_f32 v12, v60, v32, -v4
	s_wait_loadcnt 0x2
	v_mul_f32_e32 v4, v63, v68
	v_dual_mul_f32 v2, v61, v35 :: v_dual_mul_f32 v15, v64, v68
	s_wait_loadcnt 0x0
	v_mul_f32_e32 v17, v66, v70
	v_mul_f32_e32 v6, v65, v70
	v_fmac_f32_e32 v13, v61, v34
	v_fma_f32 v14, v62, v34, -v2
	v_fmac_f32_e32 v15, v63, v67
	v_fma_f32 v16, v64, v67, -v4
	v_fmac_f32_e32 v17, v65, v69
	v_fma_f32 v18, v66, v69, -v6
	v_fma_f32 v6, v3, v36, -v37
	ds_store_2addr_b64 v74, v[0:1], v[7:8] offset0:106 offset1:132
	ds_store_2addr_b64 v75, v[9:10], v[11:12] offset0:30 offset1:56
	;; [unrolled: 1-line block ×4, first 2 shown]
.LBB0_3:
	s_or_b32 exec_lo, exec_lo, s3
	v_mov_b32_e32 v4, 0
	v_mov_b32_e32 v5, 0
	global_wb scope:SCOPE_SE
	s_wait_dscnt 0x0
	s_wait_kmcnt 0x0
	s_barrier_signal -1
	s_barrier_wait -1
	global_inv scope:SCOPE_SE
                                        ; implicit-def: $vgpr22
                                        ; implicit-def: $vgpr18
                                        ; implicit-def: $vgpr14
                                        ; implicit-def: $vgpr8
                                        ; implicit-def: $vgpr40
                                        ; implicit-def: $vgpr26
                                        ; implicit-def: $vgpr30
                                        ; implicit-def: $vgpr38
	s_and_saveexec_b32 s2, vcc_lo
	s_cbranch_execz .LBB0_5
; %bb.4:
	v_lshl_add_u32 v0, v50, 3, v92
	s_delay_alu instid0(VALU_DEP_1)
	v_add_nc_u32_e32 v1, 0x800, v0
	ds_load_2addr_b64 v[4:7], v0 offset1:26
	ds_load_2addr_b64 v[36:39], v0 offset0:52 offset1:78
	ds_load_2addr_b64 v[28:31], v0 offset0:104 offset1:130
	;; [unrolled: 1-line block ×7, first 2 shown]
	ds_load_b64 v[40:41], v0 offset:3328
.LBB0_5:
	s_wait_alu 0xfffe
	s_or_b32 exec_lo, exec_lo, s2
	s_wait_dscnt 0x0
	v_dual_sub_f32 v46, v7, v41 :: v_dual_add_f32 v51, v40, v6
	v_sub_f32_e32 v44, v6, v40
	v_dual_sub_f32 v132, v38, v8 :: v_dual_add_f32 v59, v9, v39
	s_delay_alu instid0(VALU_DEP_3) | instskip(NEXT) | instid1(VALU_DEP_3)
	v_dual_mul_f32 v81, 0xbf65296c, v46 :: v_dual_add_f32 v52, v41, v7
	v_mul_f32_e32 v89, 0xbf65296c, v44
	v_dual_mul_f32 v72, 0xbf2c7751, v46 :: v_dual_add_f32 v53, v10, v36
	v_mul_f32_e32 v186, 0xbf763a35, v44
	s_clause 0x1
	s_load_b64 s[4:5], s[0:1], 0x20
	s_load_b64 s[2:3], s[0:1], 0x8
	v_fma_f32 v33, 0x3ee437d1, v52, -v89
	v_mul_f32_e32 v76, 0xbf2c7751, v44
	global_wb scope:SCOPE_SE
	s_wait_kmcnt 0x0
	s_barrier_signal -1
	s_barrier_wait -1
	v_add_f32_e32 v33, v33, v5
	v_fma_f32 v3, 0x3f3d2fb0, v52, -v76
	v_mul_f32_e32 v66, 0xbeb8f4ab, v44
	v_sub_f32_e32 v48, v37, v11
	v_dual_add_f32 v54, v11, v37 :: v_dual_add_f32 v55, v8, v38
	s_delay_alu instid0(VALU_DEP_4) | instskip(NEXT) | instid1(VALU_DEP_4)
	v_add_f32_e32 v3, v3, v5
	v_fma_f32 v1, 0x3f6eb680, v52, -v66
	v_mul_f32_e32 v60, 0xbeb8f4ab, v46
	v_dual_sub_f32 v47, v36, v10 :: v_dual_mul_f32 v110, 0xbf7ee86f, v44
	v_mul_f32_e32 v63, 0xbf2c7751, v48
	s_delay_alu instid0(VALU_DEP_3) | instskip(NEXT) | instid1(VALU_DEP_3)
	v_dual_add_f32 v1, v1, v5 :: v_dual_fmamk_f32 v0, v51, 0x3f6eb680, v60
	v_mul_f32_e32 v83, 0xbf7ee86f, v47
	v_mul_f32_e32 v99, 0xbf7ee86f, v46
	s_delay_alu instid0(VALU_DEP_4) | instskip(NEXT) | instid1(VALU_DEP_4)
	v_dual_fmamk_f32 v42, v53, 0x3f3d2fb0, v63 :: v_dual_sub_f32 v49, v39, v9
	v_add_f32_e32 v0, v0, v4
	s_delay_alu instid0(VALU_DEP_4) | instskip(SKIP_4) | instid1(VALU_DEP_4)
	v_fma_f32 v45, 0x3dbcf732, v54, -v83
	v_fmamk_f32 v32, v51, 0x3ee437d1, v81
	v_mul_f32_e32 v78, 0xbf7ee86f, v48
	v_fmamk_f32 v34, v51, 0x3dbcf732, v99
	v_mul_f32_e32 v67, 0xbf2c7751, v47
	v_dual_add_f32 v3, v45, v3 :: v_dual_add_f32 v32, v32, v4
	v_add_f32_e32 v0, v42, v0
	v_fma_f32 v35, 0x3dbcf732, v52, -v110
	s_delay_alu instid0(VALU_DEP_4) | instskip(SKIP_3) | instid1(VALU_DEP_4)
	v_fma_f32 v42, 0x3f3d2fb0, v54, -v67
	v_fmamk_f32 v2, v51, 0x3f3d2fb0, v72
	v_fmamk_f32 v43, v53, 0x3dbcf732, v78
	v_dual_mul_f32 v100, 0xbf4c4adb, v47 :: v_dual_mul_f32 v85, 0xbf4c4adb, v49
	v_add_f32_e32 v1, v42, v1
	s_delay_alu instid0(VALU_DEP_4) | instskip(SKIP_1) | instid1(VALU_DEP_2)
	v_dual_add_f32 v2, v2, v4 :: v_dual_add_f32 v35, v35, v5
	v_dual_add_f32 v34, v34, v4 :: v_dual_mul_f32 v115, 0xbe3c28d5, v47
	v_dual_mul_f32 v187, 0x3f06c442, v47 :: v_dual_add_f32 v2, v43, v2
	v_fma_f32 v43, 0xbf1a4643, v54, -v100
	global_inv scope:SCOPE_SE
	v_dual_sub_f32 v137, v28, v14 :: v_dual_sub_f32 v136, v29, v15
	v_fma_f32 v58, 0xbf59a7d5, v54, -v187
	v_add_f32_e32 v33, v43, v33
	v_fma_f32 v43, 0xbf7ba420, v54, -v115
	s_delay_alu instid0(VALU_DEP_4)
	v_mul_f32_e32 v77, 0xbf7ee86f, v137
	v_mul_f32_e32 v87, 0xbf4c4adb, v48
	;; [unrolled: 1-line block ×4, first 2 shown]
	v_dual_add_f32 v35, v43, v35 :: v_dual_mul_f32 v88, 0xbf4c4adb, v132
	v_dual_mul_f32 v116, 0x3f763a35, v49 :: v_dual_mul_f32 v103, 0x3f763a35, v136
	s_delay_alu instid0(VALU_DEP_4) | instskip(SKIP_1) | instid1(VALU_DEP_4)
	v_fma_f32 v43, 0x3ee437d1, v59, -v70
	v_fmamk_f32 v42, v53, 0xbf1a4643, v87
	v_fma_f32 v45, 0xbf1a4643, v59, -v88
	v_dual_mul_f32 v68, 0xbf65296c, v49 :: v_dual_add_f32 v61, v14, v28
	s_delay_alu instid0(VALU_DEP_4) | instskip(SKIP_1) | instid1(VALU_DEP_4)
	v_add_f32_e32 v1, v43, v1
	v_dual_mul_f32 v73, 0xbf7ee86f, v136 :: v_dual_add_f32 v62, v15, v29
	v_dual_add_f32 v3, v45, v3 :: v_dual_mul_f32 v98, 0x3e3c28d5, v49
	v_add_f32_e32 v32, v42, v32
	v_fmamk_f32 v42, v53, 0xbf7ba420, v107
	v_dual_mul_f32 v121, 0x3eb8f4ab, v136 :: v_dual_mul_f32 v128, 0x3eb8f4ab, v137
	v_fmamk_f32 v43, v55, 0xbe8c1d8e, v116
	v_sub_f32_e32 v145, v30, v12
	s_delay_alu instid0(VALU_DEP_4) | instskip(SKIP_2) | instid1(VALU_DEP_3)
	v_add_f32_e32 v34, v42, v34
	v_fmamk_f32 v42, v55, 0x3ee437d1, v68
	v_dual_mul_f32 v123, 0x3f763a35, v132 :: v_dual_mul_f32 v114, 0x3f763a35, v137
	v_dual_add_f32 v65, v13, v31 :: v_dual_add_f32 v34, v43, v34
	v_mul_f32_e32 v95, 0xbe3c28d5, v136
	s_delay_alu instid0(VALU_DEP_4)
	v_add_f32_e32 v0, v42, v0
	v_fmamk_f32 v42, v55, 0xbf1a4643, v85
	v_fma_f32 v43, 0x3dbcf732, v62, -v77
	v_mul_f32_e32 v106, 0x3e3c28d5, v132
	v_fma_f32 v45, 0xbe8c1d8e, v59, -v123
	v_sub_f32_e32 v142, v31, v13
	v_dual_add_f32 v2, v42, v2 :: v_dual_mul_f32 v97, 0xbe3c28d5, v137
	v_add_f32_e32 v1, v43, v1
	v_fma_f32 v42, 0xbf7ba420, v59, -v106
	v_dual_add_f32 v35, v45, v35 :: v_dual_add_f32 v64, v12, v30
	v_mul_f32_e32 v105, 0x3f06c442, v145
	v_fma_f32 v43, 0xbf7ba420, v62, -v97
	s_delay_alu instid0(VALU_DEP_4)
	v_add_f32_e32 v33, v42, v33
	v_fmamk_f32 v45, v61, 0xbe8c1d8e, v103
	v_dual_add_f32 v69, v18, v24 :: v_dual_mul_f32 v122, 0x3f2c7751, v145
	v_sub_f32_e32 v159, v24, v18
	v_add_f32_e32 v3, v43, v3
	v_fmamk_f32 v43, v61, 0x3f6eb680, v121
	v_mul_f32_e32 v84, 0xbf763a35, v145
	v_fmamk_f32 v57, v55, 0xbf7ba420, v98
	v_dual_mul_f32 v126, 0xbf65296c, v142 :: v_dual_mul_f32 v131, 0xbf65296c, v145
	s_delay_alu instid0(VALU_DEP_4) | instskip(NEXT) | instid1(VALU_DEP_4)
	v_add_f32_e32 v34, v43, v34
	v_fma_f32 v43, 0xbe8c1d8e, v65, -v84
	v_fmamk_f32 v42, v61, 0x3dbcf732, v73
	v_mul_f32_e32 v79, 0xbf763a35, v142
	v_dual_mul_f32 v176, 0xbf763a35, v46 :: v_dual_add_f32 v71, v19, v25
	s_delay_alu instid0(VALU_DEP_3) | instskip(SKIP_4) | instid1(VALU_DEP_4)
	v_dual_add_f32 v1, v43, v1 :: v_dual_add_f32 v0, v42, v0
	v_fmamk_f32 v42, v61, 0xbf7ba420, v95
	v_mul_f32_e32 v177, 0x3f06c442, v48
	v_dual_mul_f32 v179, 0xbf65296c, v136 :: v_dual_mul_f32 v184, 0xbf65296c, v137
	v_mul_f32_e32 v182, 0x3f7ee86f, v159
	v_add_f32_e32 v2, v42, v2
	v_fma_f32 v42, 0xbe8c1d8e, v62, -v114
	v_dual_add_f32 v32, v57, v32 :: v_dual_mul_f32 v125, 0xbeb8f4ab, v159
	v_dual_mul_f32 v134, 0xbf06c442, v159 :: v_dual_sub_f32 v161, v27, v17
	s_delay_alu instid0(VALU_DEP_2) | instskip(SKIP_1) | instid1(VALU_DEP_3)
	v_dual_add_f32 v33, v42, v33 :: v_dual_add_f32 v32, v45, v32
	v_fma_f32 v42, 0x3f6eb680, v62, -v128
	v_dual_add_f32 v75, v17, v27 :: v_dual_mul_f32 v96, 0xbf06c442, v161
	v_dual_sub_f32 v163, v26, v16 :: v_dual_mul_f32 v108, 0x3f65296c, v161
	s_delay_alu instid0(VALU_DEP_3) | instskip(SKIP_1) | instid1(VALU_DEP_3)
	v_dual_add_f32 v35, v42, v35 :: v_dual_fmamk_f32 v42, v64, 0xbe8c1d8e, v79
	v_mul_f32_e32 v133, 0x3f4c4adb, v161
	v_mul_f32_e32 v101, 0xbf06c442, v163
	;; [unrolled: 1-line block ×3, first 2 shown]
	v_sub_f32_e32 v164, v21, v23
	v_add_f32_e32 v0, v42, v0
	v_fma_f32 v42, 0xbf59a7d5, v65, -v105
	v_dual_sub_f32 v167, v20, v22 :: v_dual_add_f32 v80, v22, v20
	v_mul_f32_e32 v185, 0x3f2c7751, v132
	v_mul_f32_e32 v180, 0xbeb8f4ab, v163
	s_delay_alu instid0(VALU_DEP_4) | instskip(NEXT) | instid1(VALU_DEP_4)
	v_add_f32_e32 v3, v42, v3
	v_mul_f32_e32 v160, 0x3f2c7751, v167
	v_fma_f32 v42, 0x3f3d2fb0, v65, -v122
	v_mul_f32_e32 v102, 0x3f06c442, v142
	v_mul_f32_e32 v109, 0xbe3c28d5, v167
	;; [unrolled: 1-line block ×3, first 2 shown]
	s_delay_alu instid0(VALU_DEP_4)
	v_dual_mul_f32 v172, 0xbf4c4adb, v164 :: v_dual_add_f32 v33, v42, v33
	v_fma_f32 v42, 0x3ee437d1, v65, -v131
	v_mul_f32_e32 v112, 0x3f2c7751, v142
	v_mul_f32_e32 v90, 0xbf4c4adb, v159
	;; [unrolled: 1-line block ×4, first 2 shown]
	v_add_f32_e32 v35, v42, v35
	v_fmamk_f32 v43, v64, 0x3f3d2fb0, v112
	v_fmamk_f32 v45, v64, 0xbf59a7d5, v102
	v_fma_f32 v42, 0xbf1a4643, v71, -v90
	v_dual_sub_f32 v158, v25, v19 :: v_dual_mul_f32 v181, 0x3f2c7751, v49
	s_delay_alu instid0(VALU_DEP_4) | instskip(NEXT) | instid1(VALU_DEP_4)
	v_add_f32_e32 v32, v43, v32
	v_dual_add_f32 v2, v45, v2 :: v_dual_fmamk_f32 v43, v64, 0x3ee437d1, v126
	v_mul_f32_e32 v113, 0x3f763a35, v159
	s_delay_alu instid0(VALU_DEP_4) | instskip(SKIP_2) | instid1(VALU_DEP_4)
	v_dual_add_f32 v1, v42, v1 :: v_dual_mul_f32 v118, 0xbeb8f4ab, v158
	v_mul_f32_e32 v129, 0xbf06c442, v158
	v_mul_f32_e32 v174, 0x3f7ee86f, v158
	v_fma_f32 v45, 0xbe8c1d8e, v71, -v113
	v_mul_f32_e32 v86, 0xbf4c4adb, v158
	v_fmamk_f32 v42, v69, 0x3f6eb680, v118
	v_mul_f32_e32 v175, 0xbeb8f4ab, v161
	v_fmamk_f32 v141, v80, 0xbf1a4643, v172
	v_dual_add_f32 v3, v45, v3 :: v_dual_add_f32 v34, v43, v34
	v_fmamk_f32 v43, v69, 0xbf1a4643, v86
	v_dual_mul_f32 v111, 0x3f763a35, v158 :: v_dual_add_f32 v32, v42, v32
	v_fmamk_f32 v42, v69, 0xbf59a7d5, v129
	v_fma_f32 v45, 0x3ee437d1, v75, -v119
	s_delay_alu instid0(VALU_DEP_3) | instskip(SKIP_1) | instid1(VALU_DEP_4)
	v_dual_add_f32 v0, v43, v0 :: v_dual_fmamk_f32 v43, v69, 0xbe8c1d8e, v111
	v_mul_f32_e32 v120, 0xbf7ee86f, v161
	v_add_f32_e32 v34, v42, v34
	s_delay_alu instid0(VALU_DEP_3) | instskip(SKIP_1) | instid1(VALU_DEP_1)
	v_add_f32_e32 v2, v43, v2
	v_fma_f32 v43, 0x3f6eb680, v71, -v125
	v_add_f32_e32 v33, v43, v33
	v_fma_f32 v43, 0xbf59a7d5, v71, -v134
	v_add_f32_e32 v74, v16, v26
	v_mul_f32_e32 v130, 0xbf7ee86f, v163
	s_delay_alu instid0(VALU_DEP_3) | instskip(SKIP_1) | instid1(VALU_DEP_4)
	v_add_f32_e32 v35, v43, v35
	v_fma_f32 v43, 0xbf59a7d5, v75, -v101
	v_fmamk_f32 v42, v74, 0xbf59a7d5, v96
	v_mul_f32_e32 v104, 0xbe3c28d5, v164
	v_add_f32_e32 v82, v23, v21
	s_delay_alu instid0(VALU_DEP_3) | instskip(SKIP_3) | instid1(VALU_DEP_3)
	v_dual_add_f32 v1, v43, v1 :: v_dual_add_f32 v0, v42, v0
	v_dual_fmamk_f32 v42, v74, 0x3ee437d1, v108 :: v_dual_add_f32 v43, v45, v3
	v_fmamk_f32 v57, v74, 0x3dbcf732, v120
	v_fmamk_f32 v3, v74, 0xbf1a4643, v133
	v_add_f32_e32 v42, v42, v2
	v_fma_f32 v2, 0x3dbcf732, v75, -v130
	s_delay_alu instid0(VALU_DEP_4) | instskip(NEXT) | instid1(VALU_DEP_4)
	v_add_f32_e32 v32, v57, v32
	v_dual_add_f32 v34, v3, v34 :: v_dual_fmamk_f32 v3, v80, 0xbf7ba420, v104
	v_fma_f32 v45, 0xbf7ba420, v82, -v109
	s_delay_alu instid0(VALU_DEP_4) | instskip(SKIP_1) | instid1(VALU_DEP_2)
	v_dual_mul_f32 v138, 0x3f4c4adb, v163 :: v_dual_add_f32 v33, v2, v33
	v_fma_f32 v140, 0x3f3d2fb0, v82, -v160
	v_fma_f32 v2, 0xbf1a4643, v75, -v138
	s_delay_alu instid0(VALU_DEP_1) | instskip(SKIP_3) | instid1(VALU_DEP_4)
	v_dual_add_f32 v35, v2, v35 :: v_dual_add_f32 v2, v3, v0
	v_fmamk_f32 v0, v80, 0x3f6eb680, v117
	v_mul_f32_e32 v127, 0xbf06c442, v164
	v_add_f32_e32 v3, v45, v1
	v_add_f32_e32 v35, v140, v35
	v_fma_f32 v45, 0xbf59a7d5, v82, -v135
	v_add_f32_e32 v0, v0, v42
	v_fmamk_f32 v42, v80, 0xbf59a7d5, v127
	s_delay_alu instid0(VALU_DEP_1) | instskip(NEXT) | instid1(VALU_DEP_1)
	v_dual_mul_f32 v124, 0x3eb8f4ab, v167 :: v_dual_add_f32 v57, v42, v32
	v_fma_f32 v1, 0x3f6eb680, v82, -v124
	v_fmamk_f32 v42, v53, 0xbf59a7d5, v177
	s_delay_alu instid0(VALU_DEP_2) | instskip(SKIP_1) | instid1(VALU_DEP_1)
	v_add_f32_e32 v1, v1, v43
	v_fmamk_f32 v43, v51, 0xbe8c1d8e, v176
	v_add_f32_e32 v32, v43, v4
	v_fma_f32 v43, 0xbe8c1d8e, v52, -v186
	s_delay_alu instid0(VALU_DEP_2) | instskip(SKIP_1) | instid1(VALU_DEP_1)
	v_add_f32_e32 v32, v42, v32
	v_fmamk_f32 v42, v55, 0x3f3d2fb0, v181
	v_dual_add_f32 v43, v43, v5 :: v_dual_add_f32 v32, v42, v32
	v_fmamk_f32 v42, v61, 0x3ee437d1, v179
	v_mul_f32_e32 v173, 0xbe3c28d5, v142
	s_delay_alu instid0(VALU_DEP_3) | instskip(SKIP_1) | instid1(VALU_DEP_4)
	v_add_f32_e32 v43, v58, v43
	v_fma_f32 v58, 0x3f3d2fb0, v59, -v185
	v_add_f32_e32 v32, v42, v32
	s_delay_alu instid0(VALU_DEP_4) | instskip(SKIP_1) | instid1(VALU_DEP_4)
	v_fmamk_f32 v42, v64, 0xbf7ba420, v173
	v_mul_f32_e32 v183, 0xbe3c28d5, v145
	v_add_f32_e32 v43, v58, v43
	v_fma_f32 v58, 0x3ee437d1, v62, -v184
	s_delay_alu instid0(VALU_DEP_4) | instskip(NEXT) | instid1(VALU_DEP_2)
	v_add_f32_e32 v32, v42, v32
	v_dual_fmamk_f32 v42, v69, 0x3dbcf732, v174 :: v_dual_add_f32 v43, v58, v43
	v_fma_f32 v58, 0xbf7ba420, v65, -v183
	s_delay_alu instid0(VALU_DEP_2) | instskip(NEXT) | instid1(VALU_DEP_2)
	v_add_f32_e32 v32, v42, v32
	v_add_f32_e32 v42, v58, v43
	v_fma_f32 v43, 0x3dbcf732, v71, -v182
	v_fmamk_f32 v58, v74, 0x3f6eb680, v175
	s_delay_alu instid0(VALU_DEP_2) | instskip(SKIP_1) | instid1(VALU_DEP_3)
	v_add_f32_e32 v42, v43, v42
	v_fma_f32 v43, 0x3f6eb680, v75, -v180
	v_add_f32_e32 v32, v58, v32
	v_add_f32_e32 v58, v45, v33
	s_delay_alu instid0(VALU_DEP_3) | instskip(SKIP_2) | instid1(VALU_DEP_2)
	v_add_f32_e32 v42, v43, v42
	v_fma_f32 v43, 0xbf1a4643, v82, -v178
	v_mul_f32_e32 v144, 0x3f2c7751, v164
	v_dual_add_f32 v32, v141, v32 :: v_dual_add_f32 v33, v43, v42
	s_delay_alu instid0(VALU_DEP_2) | instskip(NEXT) | instid1(VALU_DEP_1)
	v_fmamk_f32 v139, v80, 0x3f3d2fb0, v144
	v_add_f32_e32 v34, v139, v34
	s_and_saveexec_b32 s0, vcc_lo
	s_cbranch_execz .LBB0_7
; %bb.6:
	v_mul_f32_e32 v45, 0xbf59a7d5, v52
	v_mul_f32_e32 v147, 0xbf06c442, v46
	;; [unrolled: 1-line block ×5, first 2 shown]
	v_fmamk_f32 v42, v44, 0x3f06c442, v45
	v_fmamk_f32 v43, v51, 0xbf59a7d5, v147
	v_mul_f32_e32 v146, 0x3ee437d1, v54
	v_mul_f32_e32 v171, 0xbf7ba420, v71
	v_dual_mul_f32 v148, 0xbe3c28d5, v44 :: v_dual_mul_f32 v151, 0xbe3c28d5, v46
	s_delay_alu instid0(VALU_DEP_4) | instskip(NEXT) | instid1(VALU_DEP_4)
	v_dual_add_f32 v42, v42, v5 :: v_dual_add_f32 v43, v43, v4
	v_fmamk_f32 v139, v47, 0xbf65296c, v146
	v_mul_f32_e32 v157, 0x3f65296c, v48
	v_mul_f32_e32 v155, 0xbf4c4adb, v145
	;; [unrolled: 1-line block ×4, first 2 shown]
	v_dual_add_f32 v42, v139, v42 :: v_dual_mul_f32 v165, 0xbf7ee86f, v49
	v_fmamk_f32 v140, v53, 0x3ee437d1, v157
	v_mul_f32_e32 v162, 0x3dbcf732, v59
	v_dual_mul_f32 v166, 0xbf1a4643, v62 :: v_dual_fmamk_f32 v193, v65, 0xbf1a4643, v155
	s_delay_alu instid0(VALU_DEP_4) | instskip(NEXT) | instid1(VALU_DEP_4)
	v_fmamk_f32 v139, v55, 0x3dbcf732, v165
	v_dual_add_f32 v43, v140, v43 :: v_dual_mul_f32 v152, 0x3eb8f4ab, v48
	s_delay_alu instid0(VALU_DEP_3) | instskip(SKIP_1) | instid1(VALU_DEP_3)
	v_fmamk_f32 v140, v137, 0xbf4c4adb, v166
	v_dual_mul_f32 v191, 0xbe8c1d8e, v82 :: v_dual_fmamk_f32 v194, v80, 0xbe8c1d8e, v192
	v_add_f32_e32 v43, v139, v43
	v_fmamk_f32 v139, v145, 0x3eb8f4ab, v169
	v_fmamk_f32 v141, v132, 0x3f7ee86f, v162
	v_mul_f32_e32 v168, 0x3f4c4adb, v136
	v_fma_f32 v157, 0x3ee437d1, v53, -v157
	v_mul_f32_e32 v143, 0xbf06c442, v49
	v_mul_f32_e32 v156, 0x3f65296c, v159
	v_dual_add_f32 v42, v141, v42 :: v_dual_fmac_f32 v45, 0xbf06c442, v44
	v_fmac_f32_e32 v146, 0x3f65296c, v47
	v_fmac_f32_e32 v162, 0xbf7ee86f, v132
	s_delay_alu instid0(VALU_DEP_3) | instskip(NEXT) | instid1(VALU_DEP_4)
	v_dual_fmamk_f32 v197, v71, 0x3ee437d1, v156 :: v_dual_add_f32 v42, v140, v42
	v_dual_fmamk_f32 v140, v64, 0x3f6eb680, v170 :: v_dual_add_f32 v45, v45, v5
	v_fmac_f32_e32 v169, 0xbeb8f4ab, v145
	s_delay_alu instid0(VALU_DEP_3)
	v_dual_mul_f32 v145, 0x3f7ee86f, v145 :: v_dual_add_f32 v42, v139, v42
	v_fmamk_f32 v139, v159, 0x3e3c28d5, v171
	v_fmamk_f32 v141, v61, 0xbf1a4643, v168
	v_add_f32_e32 v45, v146, v45
	v_fmac_f32_e32 v166, 0x3f4c4adb, v137
	v_add_f32_e32 v6, v6, v4
	s_delay_alu instid0(VALU_DEP_4) | instskip(SKIP_2) | instid1(VALU_DEP_4)
	v_dual_add_f32 v42, v139, v42 :: v_dual_add_f32 v43, v141, v43
	v_mul_f32_e32 v189, 0x3f3d2fb0, v75
	v_fmamk_f32 v141, v54, 0x3f6eb680, v149
	v_dual_add_f32 v45, v162, v45 :: v_dual_add_f32 v6, v36, v6
	s_delay_alu instid0(VALU_DEP_4) | instskip(NEXT) | instid1(VALU_DEP_4)
	v_dual_add_f32 v43, v140, v43 :: v_dual_fmamk_f32 v140, v69, 0xbf7ba420, v188
	v_fmamk_f32 v139, v163, 0xbf2c7751, v189
	v_fmac_f32_e32 v171, 0xbe3c28d5, v159
	s_delay_alu instid0(VALU_DEP_4) | instskip(NEXT) | instid1(VALU_DEP_4)
	v_dual_mul_f32 v159, 0xbf2c7751, v159 :: v_dual_add_f32 v6, v38, v6
	v_add_f32_e32 v43, v140, v43
	v_fmamk_f32 v140, v52, 0xbf7ba420, v148
	v_dual_add_f32 v42, v139, v42 :: v_dual_fmac_f32 v189, 0x3f2c7751, v163
	s_delay_alu instid0(VALU_DEP_4) | instskip(NEXT) | instid1(VALU_DEP_3)
	v_dual_add_f32 v6, v28, v6 :: v_dual_add_f32 v7, v7, v5
	v_add_f32_e32 v140, v140, v5
	v_mul_f32_e32 v190, 0x3f2c7751, v161
	v_fma_f32 v147, 0xbf59a7d5, v51, -v147
	s_delay_alu instid0(VALU_DEP_4) | instskip(NEXT) | instid1(VALU_DEP_1)
	v_add_f32_e32 v6, v30, v6
	v_dual_fmamk_f32 v139, v74, 0x3f3d2fb0, v190 :: v_dual_add_f32 v6, v24, v6
	s_delay_alu instid0(VALU_DEP_1)
	v_add_f32_e32 v153, v139, v43
	v_fmamk_f32 v43, v167, 0x3f763a35, v191
	v_add_f32_e32 v139, v141, v140
	v_mul_f32_e32 v150, 0xbf06c442, v132
	v_fma_f32 v141, 0x3f6eb680, v53, -v152
	v_add_f32_e32 v6, v26, v6
	v_add_f32_e32 v43, v43, v42
	v_fma_f32 v42, 0xbf7ba420, v51, -v151
	v_fmac_f32_e32 v152, 0x3f6eb680, v53
	s_delay_alu instid0(VALU_DEP_4) | instskip(NEXT) | instid1(VALU_DEP_3)
	v_add_f32_e32 v6, v20, v6
	v_add_f32_e32 v42, v42, v4
	s_delay_alu instid0(VALU_DEP_2) | instskip(NEXT) | instid1(VALU_DEP_2)
	v_add_f32_e32 v6, v22, v6
	v_add_f32_e32 v42, v141, v42
	v_fma_f32 v141, 0xbf59a7d5, v55, -v143
	v_fmamk_f32 v140, v59, 0xbf59a7d5, v150
	s_delay_alu instid0(VALU_DEP_4) | instskip(NEXT) | instid1(VALU_DEP_3)
	v_add_f32_e32 v6, v16, v6
	v_add_f32_e32 v195, v141, v42
	s_delay_alu instid0(VALU_DEP_3) | instskip(SKIP_1) | instid1(VALU_DEP_4)
	v_dual_add_f32 v139, v140, v139 :: v_dual_mul_f32 v154, 0x3f2c7751, v137
	v_dual_mul_f32 v141, 0xbf763a35, v163 :: v_dual_add_f32 v42, v194, v153
	v_dual_mul_f32 v137, 0xbf06c442, v137 :: v_dual_add_f32 v6, v18, v6
	s_delay_alu instid0(VALU_DEP_3) | instskip(SKIP_1) | instid1(VALU_DEP_3)
	v_fmamk_f32 v140, v62, 0x3f3d2fb0, v154
	v_fma_f32 v18, 0xbf7ba420, v52, -v148
	v_add_f32_e32 v6, v12, v6
	s_delay_alu instid0(VALU_DEP_2) | instskip(NEXT) | instid1(VALU_DEP_1)
	v_dual_add_f32 v139, v140, v139 :: v_dual_add_f32 v12, v18, v5
	v_dual_add_f32 v14, v14, v6 :: v_dual_add_f32 v193, v193, v139
	v_mul_f32_e32 v140, 0x3f2c7751, v136
	s_delay_alu instid0(VALU_DEP_2) | instskip(NEXT) | instid1(VALU_DEP_2)
	v_dual_add_f32 v8, v8, v14 :: v_dual_add_f32 v193, v197, v193
	v_fma_f32 v196, 0x3f3d2fb0, v61, -v140
	v_fmac_f32_e32 v140, 0x3f3d2fb0, v61
	s_delay_alu instid0(VALU_DEP_2) | instskip(SKIP_4) | instid1(VALU_DEP_4)
	v_dual_add_f32 v8, v10, v8 :: v_dual_add_f32 v153, v196, v195
	v_fmamk_f32 v195, v75, 0xbe8c1d8e, v141
	v_dual_mul_f32 v139, 0xbf4c4adb, v142 :: v_dual_add_f32 v196, v147, v4
	v_mul_f32_e32 v147, 0xbf763a35, v161
	v_mul_f32_e32 v142, 0x3f7ee86f, v142
	v_add_f32_e32 v162, v195, v193
	s_delay_alu instid0(VALU_DEP_4) | instskip(SKIP_3) | instid1(VALU_DEP_4)
	v_fma_f32 v194, 0xbf1a4643, v64, -v139
	v_add_f32_e32 v146, v157, v196
	v_fma_f32 v157, 0x3dbcf732, v55, -v165
	v_add_f32_e32 v8, v40, v8
	v_dual_add_f32 v194, v194, v153 :: v_dual_mul_f32 v153, 0x3f65296c, v158
	s_delay_alu instid0(VALU_DEP_3) | instskip(SKIP_1) | instid1(VALU_DEP_3)
	v_add_f32_e32 v146, v157, v146
	v_fma_f32 v157, 0xbf1a4643, v61, -v168
	v_fma_f32 v197, 0x3ee437d1, v69, -v153
	s_delay_alu instid0(VALU_DEP_1) | instskip(SKIP_1) | instid1(VALU_DEP_1)
	v_add_f32_e32 v165, v197, v194
	v_fma_f32 v194, 0xbe8c1d8e, v74, -v147
	v_dual_add_f32 v168, v194, v165 :: v_dual_add_f32 v165, v157, v146
	v_dual_mul_f32 v146, 0x3f7ee86f, v164 :: v_dual_add_f32 v45, v166, v45
	v_fma_f32 v166, 0x3f6eb680, v64, -v170
	s_delay_alu instid0(VALU_DEP_2) | instskip(NEXT) | instid1(VALU_DEP_2)
	v_fma_f32 v170, 0x3dbcf732, v80, -v146
	v_dual_fmac_f32 v146, 0x3dbcf732, v80 :: v_dual_add_f32 v165, v166, v165
	v_fma_f32 v166, 0xbf7ba420, v69, -v188
	v_fma_f32 v188, 0x3f3d2fb0, v74, -v190
	v_fmac_f32_e32 v153, 0x3ee437d1, v69
	s_delay_alu instid0(VALU_DEP_3) | instskip(SKIP_2) | instid1(VALU_DEP_3)
	v_dual_add_f32 v166, v166, v165 :: v_dual_mul_f32 v165, 0xbf4c4adb, v44
	v_add_f32_e32 v44, v170, v168
	v_mul_f32_e32 v168, 0xbf4c4adb, v46
	v_add_f32_e32 v188, v188, v166
	s_delay_alu instid0(VALU_DEP_4) | instskip(NEXT) | instid1(VALU_DEP_1)
	v_fmamk_f32 v166, v52, 0xbf1a4643, v165
	v_add_f32_e32 v46, v166, v5
	v_dual_mul_f32 v166, 0xbeb8f4ab, v132 :: v_dual_add_f32 v45, v169, v45
	v_fma_f32 v132, 0xbf1a4643, v51, -v168
	v_mul_f32_e32 v157, 0x3f7ee86f, v167
	s_delay_alu instid0(VALU_DEP_3) | instskip(NEXT) | instid1(VALU_DEP_2)
	v_dual_fmac_f32 v168, 0xbf1a4643, v51 :: v_dual_add_f32 v171, v171, v45
	v_dual_add_f32 v132, v132, v4 :: v_dual_fmamk_f32 v169, v82, 0x3dbcf732, v157
	s_delay_alu instid0(VALU_DEP_1) | instskip(NEXT) | instid1(VALU_DEP_3)
	v_add_f32_e32 v45, v169, v162
	v_add_f32_e32 v169, v189, v171
	v_mul_f32_e32 v162, 0x3f763a35, v47
	v_fma_f32 v189, 0xbe8c1d8e, v80, -v192
	v_fmac_f32_e32 v191, 0xbf763a35, v167
	s_delay_alu instid0(VALU_DEP_1) | instskip(SKIP_2) | instid1(VALU_DEP_3)
	v_dual_fmamk_f32 v170, v54, 0xbe8c1d8e, v162 :: v_dual_add_f32 v47, v191, v169
	v_mul_f32_e32 v169, 0x3f763a35, v48
	v_fmamk_f32 v48, v59, 0x3f6eb680, v166
	v_add_f32_e32 v46, v170, v46
	v_mul_f32_e32 v170, 0xbeb8f4ab, v49
	v_fmac_f32_e32 v147, 0xbe8c1d8e, v74
	v_fma_f32 v171, 0xbe8c1d8e, v53, -v169
	s_delay_alu instid0(VALU_DEP_4) | instskip(NEXT) | instid1(VALU_DEP_2)
	v_add_f32_e32 v46, v48, v46
	v_dual_fmamk_f32 v48, v62, 0xbf59a7d5, v137 :: v_dual_add_f32 v49, v171, v132
	v_fma_f32 v132, 0x3f6eb680, v55, -v170
	v_mul_f32_e32 v171, 0xbf06c442, v136
	v_fmamk_f32 v136, v71, 0x3f3d2fb0, v159
	s_delay_alu instid0(VALU_DEP_4) | instskip(NEXT) | instid1(VALU_DEP_4)
	v_add_f32_e32 v46, v48, v46
	v_dual_fmamk_f32 v48, v65, 0x3dbcf732, v145 :: v_dual_add_f32 v49, v132, v49
	s_delay_alu instid0(VALU_DEP_4) | instskip(SKIP_1) | instid1(VALU_DEP_3)
	v_fma_f32 v132, 0xbf59a7d5, v61, -v171
	v_fmac_f32_e32 v170, 0x3f6eb680, v55
	v_add_f32_e32 v48, v48, v46
	s_delay_alu instid0(VALU_DEP_3)
	v_dual_add_f32 v46, v189, v188 :: v_dual_add_f32 v49, v132, v49
	v_mul_f32_e32 v132, 0xbf2c7751, v158
	v_mul_f32_e32 v158, 0xbe3c28d5, v161
	;; [unrolled: 1-line block ×3, first 2 shown]
	v_fma_f32 v188, 0x3dbcf732, v64, -v142
	v_add_f32_e32 v48, v136, v48
	v_mul_f32_e32 v136, 0xbe3c28d5, v163
	s_delay_alu instid0(VALU_DEP_4)
	v_dual_fmac_f32 v142, 0x3dbcf732, v64 :: v_dual_add_f32 v187, v187, v161
	v_mul_f32_e32 v161, 0x3f65296c, v167
	v_mul_f32_e32 v167, 0xbe8c1d8e, v51
	v_add_f32_e32 v49, v188, v49
	v_fma_f32 v188, 0x3f3d2fb0, v69, -v132
	v_fma_f32 v14, 0xbf7ba420, v75, -v136
	s_delay_alu instid0(VALU_DEP_4) | instskip(NEXT) | instid1(VALU_DEP_1)
	v_dual_fmac_f32 v132, 0x3f3d2fb0, v69 :: v_dual_sub_f32 v167, v167, v176
	v_add_f32_e32 v167, v167, v4
	v_mul_f32_e32 v163, 0xbe8c1d8e, v52
	s_delay_alu instid0(VALU_DEP_1) | instskip(SKIP_2) | instid1(VALU_DEP_3)
	v_dual_add_f32 v163, v186, v163 :: v_dual_fmamk_f32 v186, v75, 0xbf7ba420, v136
	v_add_f32_e32 v49, v188, v49
	v_fma_f32 v188, 0xbf7ba420, v74, -v158
	v_dual_fmac_f32 v158, 0xbf7ba420, v74 :: v_dual_add_f32 v163, v163, v5
	s_delay_alu instid0(VALU_DEP_4) | instskip(SKIP_1) | instid1(VALU_DEP_1)
	v_add_f32_e32 v48, v186, v48
	v_mul_f32_e32 v186, 0x3f3d2fb0, v59
	v_dual_add_f32 v188, v188, v49 :: v_dual_add_f32 v185, v185, v186
	s_delay_alu instid0(VALU_DEP_4) | instskip(SKIP_2) | instid1(VALU_DEP_3)
	v_dual_mul_f32 v186, 0x3ee437d1, v62 :: v_dual_add_f32 v49, v187, v163
	v_mul_f32_e32 v163, 0x3f65296c, v164
	v_mul_f32_e32 v164, 0xbf59a7d5, v53
	v_add_f32_e32 v176, v184, v186
	v_mul_f32_e32 v184, 0xbf7ba420, v65
	v_add_f32_e32 v49, v185, v49
	s_delay_alu instid0(VALU_DEP_4) | instskip(SKIP_2) | instid1(VALU_DEP_4)
	v_sub_f32_e32 v164, v164, v177
	v_fmac_f32_e32 v169, 0xbe8c1d8e, v53
	v_fmac_f32_e32 v151, 0xbf7ba420, v51
	v_dual_add_f32 v49, v176, v49 :: v_dual_add_f32 v176, v183, v184
	s_delay_alu instid0(VALU_DEP_4) | instskip(SKIP_2) | instid1(VALU_DEP_2)
	v_add_f32_e32 v164, v164, v167
	v_mul_f32_e32 v167, 0x3dbcf732, v71
	v_mul_f32_e32 v183, 0x3ee437d1, v61
	v_dual_add_f32 v176, v176, v49 :: v_dual_add_f32 v167, v182, v167
	s_delay_alu instid0(VALU_DEP_2) | instskip(NEXT) | instid1(VALU_DEP_2)
	v_sub_f32_e32 v179, v183, v179
	v_add_f32_e32 v167, v167, v176
	v_mul_f32_e32 v176, 0x3dbcf732, v52
	s_delay_alu instid0(VALU_DEP_1) | instskip(NEXT) | instid1(VALU_DEP_1)
	v_dual_mul_f32 v185, 0x3f3d2fb0, v55 :: v_dual_add_f32 v110, v110, v176
	v_sub_f32_e32 v181, v185, v181
	s_delay_alu instid0(VALU_DEP_2) | instskip(NEXT) | instid1(VALU_DEP_2)
	v_add_f32_e32 v110, v110, v5
	v_dual_add_f32 v164, v181, v164 :: v_dual_mul_f32 v181, 0xbf7ba420, v54
	s_delay_alu instid0(VALU_DEP_1) | instskip(SKIP_1) | instid1(VALU_DEP_3)
	v_dual_add_f32 v164, v179, v164 :: v_dual_fmamk_f32 v177, v82, 0x3ee437d1, v161
	v_mul_f32_e32 v179, 0x3f6eb680, v75
	v_add_f32_e32 v115, v115, v181
	s_delay_alu instid0(VALU_DEP_3) | instskip(NEXT) | instid1(VALU_DEP_3)
	v_add_f32_e32 v49, v177, v48
	v_dual_mul_f32 v177, 0xbf7ba420, v64 :: v_dual_add_f32 v176, v180, v179
	s_delay_alu instid0(VALU_DEP_3) | instskip(SKIP_2) | instid1(VALU_DEP_4)
	v_add_f32_e32 v110, v115, v110
	v_fma_f32 v184, 0x3ee437d1, v80, -v163
	v_fmac_f32_e32 v163, 0x3ee437d1, v80
	v_sub_f32_e32 v173, v177, v173
	v_mul_f32_e32 v177, 0x3dbcf732, v69
	v_dual_add_f32 v167, v176, v167 :: v_dual_mul_f32 v176, 0x3f6eb680, v74
	s_delay_alu instid0(VALU_DEP_3) | instskip(NEXT) | instid1(VALU_DEP_3)
	v_dual_fmac_f32 v171, 0xbf59a7d5, v61 :: v_dual_add_f32 v164, v173, v164
	v_dual_sub_f32 v173, v177, v174 :: v_dual_mul_f32 v174, 0xbe8c1d8e, v59
	v_add_f32_e32 v48, v184, v188
	s_delay_alu instid0(VALU_DEP_2) | instskip(SKIP_1) | instid1(VALU_DEP_2)
	v_dual_add_f32 v164, v173, v164 :: v_dual_add_f32 v115, v123, v174
	v_mul_f32_e32 v123, 0x3f6eb680, v62
	v_dual_sub_f32 v173, v176, v175 :: v_dual_add_f32 v110, v115, v110
	s_delay_alu instid0(VALU_DEP_1) | instskip(SKIP_2) | instid1(VALU_DEP_3)
	v_dual_add_f32 v115, v128, v123 :: v_dual_add_f32 v128, v173, v164
	v_mul_f32_e32 v164, 0xbf1a4643, v80
	v_mul_f32_e32 v123, 0x3ee437d1, v65
	v_dual_mul_f32 v173, 0x3dbcf732, v51 :: v_dual_add_f32 v110, v115, v110
	s_delay_alu instid0(VALU_DEP_1) | instskip(NEXT) | instid1(VALU_DEP_1)
	v_dual_sub_f32 v164, v164, v172 :: v_dual_sub_f32 v99, v173, v99
	v_add_f32_e32 v172, v164, v128
	v_mul_f32_e32 v128, 0x3ee437d1, v51
	v_add_f32_e32 v115, v131, v123
	v_mul_f32_e32 v123, 0xbf59a7d5, v71
	v_mul_f32_e32 v131, 0xbf7ba420, v53
	v_add_f32_e32 v99, v99, v4
	s_delay_alu instid0(VALU_DEP_4) | instskip(NEXT) | instid1(VALU_DEP_4)
	v_dual_sub_f32 v81, v128, v81 :: v_dual_add_f32 v110, v115, v110
	v_add_f32_e32 v115, v134, v123
	s_delay_alu instid0(VALU_DEP_4)
	v_sub_f32_e32 v107, v131, v107
	v_mul_f32_e32 v123, 0xbe8c1d8e, v55
	v_mul_f32_e32 v131, 0xbf1a4643, v75
	;; [unrolled: 1-line block ×3, first 2 shown]
	v_add_f32_e32 v110, v115, v110
	v_add_f32_e32 v99, v107, v99
	v_sub_f32_e32 v107, v123, v116
	v_dual_mul_f32 v115, 0x3f6eb680, v61 :: v_dual_add_f32 v116, v138, v131
	v_add_f32_e32 v88, v88, v128
	s_delay_alu instid0(VALU_DEP_3) | instskip(NEXT) | instid1(VALU_DEP_3)
	v_dual_mul_f32 v128, 0xbf59a7d5, v65 :: v_dual_add_f32 v99, v107, v99
	v_sub_f32_e32 v107, v115, v121
	s_delay_alu instid0(VALU_DEP_4) | instskip(NEXT) | instid1(VALU_DEP_3)
	v_dual_mul_f32 v121, 0x3ee437d1, v64 :: v_dual_add_f32 v110, v116, v110
	v_add_f32_e32 v105, v105, v128
	v_mul_f32_e32 v131, 0x3dbcf732, v54
	s_delay_alu instid0(VALU_DEP_4) | instskip(NEXT) | instid1(VALU_DEP_4)
	v_add_f32_e32 v99, v107, v99
	v_sub_f32_e32 v121, v121, v126
	v_mul_f32_e32 v107, 0xbf1a4643, v54
	v_mul_f32_e32 v177, 0xbf1a4643, v82
	v_add_f32_e32 v83, v83, v131
	v_mul_f32_e32 v126, 0x3f3d2fb0, v51
	v_add_f32_e32 v99, v121, v99
	v_mul_f32_e32 v121, 0xbf7ba420, v59
	v_dual_add_f32 v100, v100, v107 :: v_dual_mul_f32 v131, 0xbe8c1d8e, v64
	s_delay_alu instid0(VALU_DEP_4) | instskip(SKIP_1) | instid1(VALU_DEP_4)
	v_sub_f32_e32 v72, v126, v72
	v_mul_f32_e32 v126, 0xbe8c1d8e, v71
	v_dual_add_f32 v106, v106, v121 :: v_dual_mul_f32 v121, 0x3f3d2fb0, v52
	s_delay_alu instid0(VALU_DEP_3) | instskip(SKIP_2) | instid1(VALU_DEP_4)
	v_dual_mul_f32 v123, 0x3f3d2fb0, v82 :: v_dual_add_f32 v72, v72, v4
	v_mul_f32_e32 v128, 0x3ee437d1, v75
	v_sub_f32_e32 v22, v131, v79
	v_dual_add_f32 v76, v76, v121 :: v_dual_mul_f32 v115, 0x3ee437d1, v52
	s_delay_alu instid0(VALU_DEP_4) | instskip(NEXT) | instid1(VALU_DEP_2)
	v_dual_add_f32 v116, v160, v123 :: v_dual_mul_f32 v123, 0xbf59a7d5, v69
	v_dual_mul_f32 v121, 0xbf7ba420, v62 :: v_dual_add_f32 v76, v76, v5
	s_delay_alu instid0(VALU_DEP_3) | instskip(SKIP_1) | instid1(VALU_DEP_4)
	v_add_f32_e32 v89, v89, v115
	v_mul_f32_e32 v115, 0x3f6eb680, v51
	v_sub_f32_e32 v123, v123, v129
	v_add_f32_e32 v174, v178, v177
	s_delay_alu instid0(VALU_DEP_4) | instskip(SKIP_1) | instid1(VALU_DEP_2)
	v_dual_add_f32 v76, v83, v76 :: v_dual_add_f32 v89, v89, v5
	v_mul_f32_e32 v83, 0x3f6eb680, v69
	v_dual_add_f32 v97, v97, v121 :: v_dual_add_f32 v76, v88, v76
	s_delay_alu instid0(VALU_DEP_3) | instskip(NEXT) | instid1(VALU_DEP_3)
	v_dual_add_f32 v89, v100, v89 :: v_dual_mul_f32 v100, 0xbf1a4643, v74
	v_dual_sub_f32 v83, v83, v118 :: v_dual_mul_f32 v118, 0xbf1a4643, v71
	v_add_f32_e32 v99, v123, v99
	v_dual_mul_f32 v123, 0xbe8c1d8e, v62 :: v_dual_mul_f32 v88, 0xbe8c1d8e, v69
	s_delay_alu instid0(VALU_DEP_4) | instskip(SKIP_1) | instid1(VALU_DEP_3)
	v_sub_f32_e32 v100, v100, v133
	v_dual_add_f32 v89, v106, v89 :: v_dual_mul_f32 v106, 0x3f3d2fb0, v80
	v_add_f32_e32 v114, v114, v123
	s_delay_alu instid0(VALU_DEP_3) | instskip(SKIP_1) | instid1(VALU_DEP_4)
	v_dual_add_f32 v76, v97, v76 :: v_dual_add_f32 v99, v100, v99
	v_mul_f32_e32 v100, 0x3f3d2fb0, v65
	v_sub_f32_e32 v106, v106, v144
	s_delay_alu instid0(VALU_DEP_4) | instskip(SKIP_1) | instid1(VALU_DEP_4)
	v_add_f32_e32 v89, v114, v89
	v_mul_f32_e32 v114, 0x3dbcf732, v53
	v_dual_mul_f32 v123, 0x3f3d2fb0, v53 :: v_dual_add_f32 v122, v122, v100
	s_delay_alu instid0(VALU_DEP_4) | instskip(SKIP_4) | instid1(VALU_DEP_3)
	v_dual_add_f32 v100, v116, v110 :: v_dual_add_f32 v99, v106, v99
	v_mul_f32_e32 v106, 0xbf1a4643, v53
	v_mul_f32_e32 v110, 0x3f6eb680, v71
	v_sub_f32_e32 v78, v114, v78
	v_dual_mul_f32 v114, 0xbf59a7d5, v75 :: v_dual_add_f32 v89, v122, v89
	v_dual_sub_f32 v87, v106, v87 :: v_dual_add_f32 v110, v125, v110
	v_mul_f32_e32 v106, 0xbf1a4643, v55
	s_delay_alu instid0(VALU_DEP_4) | instskip(NEXT) | instid1(VALU_DEP_3)
	v_dual_mul_f32 v129, 0x3f3d2fb0, v54 :: v_dual_add_f32 v72, v78, v72
	v_dual_mul_f32 v78, 0x3dbcf732, v74 :: v_dual_add_f32 v89, v110, v89
	s_delay_alu instid0(VALU_DEP_3) | instskip(SKIP_2) | instid1(VALU_DEP_3)
	v_dual_mul_f32 v110, 0xbf7ba420, v55 :: v_dual_sub_f32 v85, v106, v85
	v_mul_f32_e32 v125, 0x3dbcf732, v75
	v_mul_f32_e32 v106, 0xbf7ba420, v80
	v_dual_add_f32 v81, v81, v4 :: v_dual_sub_f32 v98, v110, v98
	v_add_f32_e32 v76, v105, v76
	v_dual_add_f32 v72, v85, v72 :: v_dual_add_f32 v67, v67, v129
	v_dual_add_f32 v7, v37, v7 :: v_dual_add_f32 v26, v90, v118
	v_add_f32_e32 v113, v113, v126
	v_add_f32_e32 v125, v130, v125
	v_mul_f32_e32 v130, 0xbe8c1d8e, v61
	v_dual_mul_f32 v126, 0x3f6eb680, v80 :: v_dual_add_f32 v81, v87, v81
	v_dual_sub_f32 v78, v78, v120 :: v_dual_mul_f32 v97, 0x3ee437d1, v74
	s_delay_alu instid0(VALU_DEP_3) | instskip(NEXT) | instid1(VALU_DEP_3)
	v_dual_sub_f32 v103, v130, v103 :: v_dual_mul_f32 v130, 0x3f3d2fb0, v64
	v_add_f32_e32 v81, v98, v81
	v_add_f32_e32 v7, v39, v7
	v_mul_f32_e32 v122, 0x3ee437d1, v59
	v_mul_f32_e32 v116, 0x3ee437d1, v55
	s_delay_alu instid0(VALU_DEP_4) | instskip(NEXT) | instid1(VALU_DEP_3)
	v_dual_sub_f32 v112, v130, v112 :: v_dual_add_f32 v81, v103, v81
	v_dual_add_f32 v7, v29, v7 :: v_dual_add_f32 v38, v70, v122
	v_mul_f32_e32 v98, 0xbf7ba420, v61
	s_delay_alu instid0(VALU_DEP_3) | instskip(NEXT) | instid1(VALU_DEP_3)
	v_dual_mul_f32 v130, 0xbf59a7d5, v64 :: v_dual_add_f32 v81, v112, v81
	v_dual_add_f32 v7, v31, v7 :: v_dual_add_f32 v76, v113, v76
	v_dual_mul_f32 v121, 0xbf59a7d5, v74 :: v_dual_sub_f32 v30, v123, v63
	s_delay_alu instid0(VALU_DEP_3) | instskip(SKIP_1) | instid1(VALU_DEP_4)
	v_add_f32_e32 v81, v83, v81
	v_mul_f32_e32 v107, 0x3f6eb680, v52
	v_dual_add_f32 v7, v25, v7 :: v_dual_sub_f32 v18, v106, v104
	s_delay_alu instid0(VALU_DEP_3) | instskip(NEXT) | instid1(VALU_DEP_3)
	v_dual_sub_f32 v25, v116, v68 :: v_dual_add_f32 v78, v78, v81
	v_add_f32_e32 v66, v66, v107
	s_delay_alu instid0(VALU_DEP_3) | instskip(SKIP_2) | instid1(VALU_DEP_3)
	v_add_f32_e32 v7, v27, v7
	v_sub_f32_e32 v95, v98, v95
	v_dual_mul_f32 v87, 0xbf59a7d5, v82 :: v_dual_mul_f32 v98, 0xbf59a7d5, v80
	v_dual_add_f32 v66, v66, v5 :: v_dual_add_f32 v7, v21, v7
	v_mul_f32_e32 v103, 0xbe8c1d8e, v65
	v_add_f32_e32 v83, v119, v128
	v_dual_add_f32 v89, v125, v89 :: v_dual_add_f32 v72, v95, v72
	v_sub_f32_e32 v95, v130, v102
	v_mul_f32_e32 v125, 0x3dbcf732, v62
	v_add_f32_e32 v66, v67, v66
	v_add_f32_e32 v7, v23, v7
	;; [unrolled: 1-line block ×3, first 2 shown]
	s_delay_alu instid0(VALU_DEP_4) | instskip(NEXT) | instid1(VALU_DEP_3)
	v_dual_add_f32 v72, v95, v72 :: v_dual_add_f32 v29, v77, v125
	v_dual_add_f32 v28, v38, v66 :: v_dual_add_f32 v17, v17, v7
	v_sub_f32_e32 v37, v126, v117
	v_dual_mul_f32 v112, 0xbf1a4643, v69 :: v_dual_add_f32 v173, v174, v167
	v_mul_f32_e32 v110, 0x3dbcf732, v61
	s_delay_alu instid0(VALU_DEP_4) | instskip(SKIP_3) | instid1(VALU_DEP_4)
	v_dual_add_f32 v28, v29, v28 :: v_dual_add_f32 v17, v19, v17
	v_sub_f32_e32 v19, v121, v96
	v_add_f32_e32 v29, v84, v103
	v_mul_f32_e32 v85, 0x3f6eb680, v82
	v_add_f32_e32 v13, v13, v17
	v_fma_f32 v17, 0x3f6eb680, v54, -v149
	s_delay_alu instid0(VALU_DEP_3) | instskip(SKIP_1) | instid1(VALU_DEP_3)
	v_dual_add_f32 v28, v29, v28 :: v_dual_add_f32 v83, v124, v85
	v_sub_f32_e32 v85, v88, v111
	v_dual_add_f32 v13, v15, v13 :: v_dual_add_f32 v12, v17, v12
	v_fma_f32 v15, 0xbf59a7d5, v59, -v150
	s_delay_alu instid0(VALU_DEP_3) | instskip(SKIP_1) | instid1(VALU_DEP_3)
	v_dual_add_f32 v87, v135, v87 :: v_dual_add_f32 v72, v85, v72
	v_dual_add_f32 v20, v26, v28 :: v_dual_add_f32 v21, v101, v114
	v_dual_add_f32 v12, v15, v12 :: v_dual_sub_f32 v81, v98, v127
	v_add_f32_e32 v98, v83, v76
	v_sub_f32_e32 v76, v97, v108
	s_delay_alu instid0(VALU_DEP_4)
	v_add_f32_e32 v20, v21, v20
	v_add_f32_e32 v9, v9, v13
	v_fma_f32 v13, 0x3f3d2fb0, v62, -v154
	v_add_f32_e32 v88, v87, v89
	v_add_f32_e32 v36, v76, v72
	v_fma_f32 v15, 0x3ee437d1, v82, -v161
	s_delay_alu instid0(VALU_DEP_4) | instskip(SKIP_1) | instid1(VALU_DEP_4)
	v_dual_add_f32 v9, v11, v9 :: v_dual_add_f32 v10, v13, v12
	v_fma_f32 v12, 0xbf1a4643, v65, -v155
	v_add_f32_e32 v97, v37, v36
	v_sub_f32_e32 v36, v115, v60
	v_fma_f32 v13, 0xbf1a4643, v52, -v165
	s_delay_alu instid0(VALU_DEP_4) | instskip(SKIP_1) | instid1(VALU_DEP_4)
	v_add_f32_e32 v10, v12, v10
	v_fma_f32 v12, 0x3ee437d1, v71, -v156
	v_dual_add_f32 v36, v36, v4 :: v_dual_mul_f32 v105, 0xbf7ba420, v82
	s_delay_alu instid0(VALU_DEP_4) | instskip(SKIP_1) | instid1(VALU_DEP_4)
	v_add_f32_e32 v5, v13, v5
	v_fma_f32 v13, 0xbe8c1d8e, v75, -v141
	v_add_f32_e32 v10, v12, v10
	s_delay_alu instid0(VALU_DEP_4) | instskip(SKIP_2) | instid1(VALU_DEP_4)
	v_dual_add_f32 v24, v30, v36 :: v_dual_add_f32 v21, v109, v105
	v_add_f32_e32 v11, v151, v4
	v_add_f32_e32 v4, v168, v4
	;; [unrolled: 1-line block ×3, first 2 shown]
	s_delay_alu instid0(VALU_DEP_4) | instskip(SKIP_1) | instid1(VALU_DEP_4)
	v_dual_add_f32 v24, v25, v24 :: v_dual_sub_f32 v25, v110, v73
	v_add_f32_e32 v7, v21, v20
	v_add_f32_e32 v4, v169, v4
	;; [unrolled: 1-line block ×3, first 2 shown]
	v_fma_f32 v12, 0xbe8c1d8e, v54, -v162
	v_add_f32_e32 v24, v25, v24
	v_fma_f32 v13, 0x3dbcf732, v82, -v157
	v_dual_add_f32 v4, v170, v4 :: v_dual_add_f32 v11, v152, v11
	s_delay_alu instid0(VALU_DEP_3) | instskip(SKIP_1) | instid1(VALU_DEP_3)
	v_dual_add_f32 v5, v12, v5 :: v_dual_add_f32 v16, v22, v24
	v_sub_f32_e32 v22, v112, v86
	v_dual_add_f32 v4, v171, v4 :: v_dual_fmac_f32 v143, 0xbf59a7d5, v55
	v_add_f32_e32 v87, v81, v78
	v_fma_f32 v12, 0x3f6eb680, v59, -v166
	s_delay_alu instid0(VALU_DEP_4) | instskip(NEXT) | instid1(VALU_DEP_4)
	v_add_f32_e32 v16, v22, v16
	v_dual_add_f32 v4, v142, v4 :: v_dual_add_f32 v11, v143, v11
	s_delay_alu instid0(VALU_DEP_2) | instskip(NEXT) | instid1(VALU_DEP_2)
	v_add_f32_e32 v16, v19, v16
	v_add_f32_e32 v4, v132, v4
	s_delay_alu instid0(VALU_DEP_3) | instskip(SKIP_3) | instid1(VALU_DEP_2)
	v_add_f32_e32 v11, v140, v11
	v_add_f32_e32 v5, v12, v5
	v_fma_f32 v12, 0xbf59a7d5, v62, -v137
	v_add_f32_e32 v6, v18, v16
	v_dual_add_f32 v16, v158, v4 :: v_dual_add_f32 v5, v12, v5
	v_fma_f32 v12, 0x3dbcf732, v65, -v145
	s_delay_alu instid0(VALU_DEP_1) | instskip(SKIP_1) | instid1(VALU_DEP_1)
	v_add_f32_e32 v5, v12, v5
	v_fma_f32 v12, 0x3f3d2fb0, v71, -v159
	v_add_f32_e32 v5, v12, v5
	v_fmac_f32_e32 v139, 0xbf1a4643, v64
	v_mul_lo_u16 v12, v93, 17
	s_delay_alu instid0(VALU_DEP_2) | instskip(NEXT) | instid1(VALU_DEP_2)
	v_dual_add_f32 v14, v14, v5 :: v_dual_add_f32 v11, v139, v11
	v_dual_add_f32 v5, v13, v10 :: v_dual_and_b32 v12, 0xffff, v12
	s_delay_alu instid0(VALU_DEP_2) | instskip(NEXT) | instid1(VALU_DEP_2)
	v_dual_add_f32 v10, v163, v16 :: v_dual_add_f32 v11, v153, v11
	v_add_lshl_u32 v12, v50, v12, 3
	s_delay_alu instid0(VALU_DEP_2) | instskip(NEXT) | instid1(VALU_DEP_1)
	v_add_f32_e32 v11, v147, v11
	v_dual_add_f32 v4, v146, v11 :: v_dual_add_f32 v11, v15, v14
	ds_store_2addr_b64 v12, v[8:9], v[6:7] offset1:1
	ds_store_2addr_b64 v12, v[97:98], v[87:88] offset0:2 offset1:3
	ds_store_2addr_b64 v12, v[99:100], v[172:173] offset0:4 offset1:5
	;; [unrolled: 1-line block ×7, first 2 shown]
	ds_store_b64 v12, v[2:3] offset:128
.LBB0_7:
	s_wait_alu 0xfffe
	s_or_b32 exec_lo, exec_lo, s0
	v_add_lshl_u32 v95, v50, v93, 3
	global_wb scope:SCOPE_SE
	s_wait_dscnt 0x0
	s_barrier_signal -1
	s_barrier_wait -1
	global_inv scope:SCOPE_SE
	v_add_nc_u32_e32 v20, 0x800, v95
	ds_load_2addr_b64 v[12:15], v95 offset1:34
	ds_load_2addr_b64 v[16:19], v95 offset0:221 offset1:255
	ds_load_2addr_b64 v[4:7], v95 offset0:68 offset1:102
	;; [unrolled: 1-line block ×5, first 2 shown]
	v_cmp_gt_u16_e64 s0, 17, v93
	s_delay_alu instid0(VALU_DEP_1)
	s_and_saveexec_b32 s1, s0
	s_cbranch_execz .LBB0_9
; %bb.8:
	v_add_nc_u32_e32 v28, 0x600, v95
	ds_load_2addr_b64 v[32:35], v28 offset0:12 offset1:233
.LBB0_9:
	s_wait_alu 0xfffe
	s_or_b32 exec_lo, exec_lo, s1
	v_add_nc_u16 v31, v93, 34
	v_add_co_u32 v30, s1, 0xffffffef, v93
	s_wait_alu 0xf1ff
	v_add_co_ci_u32_e64 v29, null, 0, -1, s1
	s_delay_alu instid0(VALU_DEP_3) | instskip(SKIP_2) | instid1(VALU_DEP_4)
	v_and_b32_e32 v28, 0xff, v31
	v_add_nc_u16 v36, v93, 0x44
	v_add_nc_u16 v38, v93, 0x88
	v_cndmask_b32_e64 v29, v29, 0, s0
	v_add_nc_u16 v40, v93, 0xaa
	v_mul_lo_u16 v39, 0xf1, v28
	v_cndmask_b32_e64 v28, v30, v93, s0
	v_and_b32_e32 v42, 0xff, v36
	v_add_nc_u16 v41, v93, 0xcc
	v_add_nc_u16 v37, v93, 0x66
	v_lshrrev_b16 v39, 12, v39
	v_lshlrev_b64_e32 v[29:30], 3, v[28:29]
	v_mul_lo_u16 v42, 0xf1, v42
	v_and_b32_e32 v47, 0xff, v41
	s_delay_alu instid0(VALU_DEP_4) | instskip(NEXT) | instid1(VALU_DEP_4)
	v_mul_lo_u16 v46, v39, 17
	v_add_co_u32 v29, s1, s2, v29
	s_wait_alu 0xf1ff
	v_add_co_ci_u32_e64 v30, s1, s3, v30, s1
	s_delay_alu instid0(VALU_DEP_3)
	v_sub_nc_u16 v31, v31, v46
	v_lshrrev_b16 v42, 12, v42
	v_mul_lo_u16 v47, 0xf1, v47
	global_load_b64 v[65:66], v[29:30], off
	v_cmp_lt_u16_e64 s1, 16, v93
	v_and_b32_e32 v46, 0xff, v31
	v_mul_lo_u16 v48, v42, 17
	v_mad_u16 v31, v39, 34, v31
	s_delay_alu instid0(VALU_DEP_3) | instskip(NEXT) | instid1(VALU_DEP_2)
	v_lshlrev_b32_e32 v46, 3, v46
	v_and_b32_e32 v31, 0xff, v31
	global_load_b64 v[71:72], v46, s[2:3]
	v_and_b32_e32 v44, 0xff, v38
	v_and_b32_e32 v45, 0xff, v40
	v_sub_nc_u16 v30, v36, v48
	v_lshrrev_b16 v29, 12, v47
	v_and_b32_e32 v43, 0xff, v37
	v_mul_lo_u16 v44, 0xf1, v44
	v_mul_lo_u16 v45, 0xf1, v45
	v_and_b32_e32 v30, 0xff, v30
	v_mul_lo_u16 v29, v29, 17
	v_mul_lo_u16 v43, 0xf1, v43
	v_lshrrev_b16 v44, 12, v44
	v_lshrrev_b16 v45, 12, v45
	v_add_lshl_u32 v103, v50, v31, 3
	v_sub_nc_u16 v29, v41, v29
	v_lshrrev_b16 v43, 12, v43
	v_mul_lo_u16 v36, v44, 17
	v_mul_lo_u16 v47, v45, 17
	s_delay_alu instid0(VALU_DEP_4) | instskip(NEXT) | instid1(VALU_DEP_4)
	v_and_b32_e32 v96, 0xff, v29
	v_mul_lo_u16 v49, v43, 17
	s_delay_alu instid0(VALU_DEP_4) | instskip(NEXT) | instid1(VALU_DEP_4)
	v_sub_nc_u16 v36, v38, v36
	v_sub_nc_u16 v38, v40, v47
	v_lshlrev_b32_e32 v40, 3, v30
	s_delay_alu instid0(VALU_DEP_4) | instskip(SKIP_2) | instid1(VALU_DEP_1)
	v_sub_nc_u16 v37, v37, v49
	global_load_b64 v[67:68], v40, s[2:3]
	v_and_b32_e32 v37, 0xff, v37
	v_lshlrev_b32_e32 v41, 3, v37
	global_load_b64 v[69:70], v41, s[2:3]
	v_and_b32_e32 v36, 0xff, v36
	v_lshlrev_b32_e32 v41, 3, v96
	s_delay_alu instid0(VALU_DEP_2) | instskip(SKIP_2) | instid1(VALU_DEP_1)
	v_lshlrev_b32_e32 v29, 3, v36
	s_wait_loadcnt_dscnt 0x101
	v_dual_mul_f32 v31, v24, v68 :: v_dual_and_b32 v38, 0xff, v38
	v_dual_fmac_f32 v31, v25, v67 :: v_dual_lshlrev_b32 v40, 3, v38
	s_clause 0x2
	global_load_b64 v[63:64], v29, s[2:3]
	global_load_b64 v[61:62], v40, s[2:3]
	;; [unrolled: 1-line block ×3, first 2 shown]
	s_wait_alu 0xf1ff
	v_cndmask_b32_e64 v29, 0, 34, s1
	v_and_b32_e32 v41, 0xffff, v45
	s_load_b128 s[4:7], s[4:5], 0x0
	global_wb scope:SCOPE_SE
	s_wait_loadcnt_dscnt 0x0
	s_wait_kmcnt 0x0
	s_barrier_signal -1
	v_add_nc_u32_e32 v28, v28, v29
	v_and_b32_e32 v29, 0xffff, v43
	s_barrier_wait -1
	global_inv scope:SCOPE_SE
	v_add_lshl_u32 v98, v50, v28, 3
	v_mul_u32_u24_e32 v29, 34, v29
	v_mul_f32_e32 v43, v34, v60
	s_delay_alu instid0(VALU_DEP_1) | instskip(NEXT) | instid1(VALU_DEP_1)
	v_dual_fmac_f32 v43, v35, v59 :: v_dual_and_b32 v40, 0xffff, v44
	v_mul_u32_u24_e32 v39, 34, v40
	v_mul_u32_u24_e32 v40, 34, v41
	v_mul_f32_e32 v41, v22, v62
	v_and_b32_e32 v28, 0xffff, v42
	v_mul_f32_e32 v42, v35, v60
	s_delay_alu instid0(VALU_DEP_3) | instskip(NEXT) | instid1(VALU_DEP_3)
	v_fmac_f32_e32 v41, v23, v61
	v_mul_u32_u24_e32 v28, 34, v28
	s_delay_alu instid0(VALU_DEP_1)
	v_add_nc_u32_e32 v28, v28, v30
	v_add_nc_u32_e32 v30, v39, v36
	;; [unrolled: 1-line block ×3, first 2 shown]
	v_mul_f32_e32 v38, v16, v66
	v_mul_f32_e32 v39, v20, v64
	v_add_lshl_u32 v102, v50, v28, 3
	v_dual_mul_f32 v28, v19, v72 :: v_dual_add_nc_u32 v29, v29, v37
	v_mul_f32_e32 v37, v17, v66
	v_fmac_f32_e32 v38, v17, v65
	v_dual_mul_f32 v40, v23, v62 :: v_dual_fmac_f32 v39, v21, v63
	v_sub_f32_e32 v23, v11, v41
	s_delay_alu instid0(VALU_DEP_4) | instskip(NEXT) | instid1(VALU_DEP_4)
	v_fma_f32 v16, v16, v65, -v37
	v_sub_f32_e32 v17, v13, v38
	v_dual_mul_f32 v37, v26, v70 :: v_dual_mul_f32 v38, v21, v64
	v_fma_f32 v22, v22, v61, -v40
	s_delay_alu instid0(VALU_DEP_4) | instskip(NEXT) | instid1(VALU_DEP_4)
	v_sub_f32_e32 v16, v12, v16
	v_fma_f32 v13, v13, 2.0, -v17
	s_delay_alu instid0(VALU_DEP_4) | instskip(SKIP_4) | instid1(VALU_DEP_4)
	v_fmac_f32_e32 v37, v27, v69
	v_fma_f32 v20, v20, v63, -v38
	v_sub_f32_e32 v22, v10, v22
	v_fma_f32 v12, v12, 2.0, -v16
	v_fma_f32 v11, v11, 2.0, -v23
	v_dual_sub_f32 v21, v9, v39 :: v_dual_sub_f32 v20, v8, v20
	ds_store_2addr_b64 v98, v[12:13], v[16:17] offset1:17
	v_sub_f32_e32 v17, v5, v31
	v_add_lshl_u32 v100, v50, v30, 3
	v_mul_f32_e32 v30, v25, v68
	v_fma_f32 v12, v18, v71, -v28
	v_fma_f32 v8, v8, 2.0, -v20
	v_fma_f32 v5, v5, 2.0, -v17
	;; [unrolled: 1-line block ×3, first 2 shown]
	v_fma_f32 v16, v24, v67, -v30
	v_fma_f32 v24, v34, v59, -v42
	v_sub_f32_e32 v12, v14, v12
	s_delay_alu instid0(VALU_DEP_3)
	v_sub_f32_e32 v16, v4, v16
	v_add_lshl_u32 v101, v50, v29, 3
	v_mul_f32_e32 v29, v18, v72
	v_sub_f32_e32 v28, v32, v24
	v_fma_f32 v14, v14, 2.0, -v12
	v_fma_f32 v4, v4, 2.0, -v16
	s_delay_alu instid0(VALU_DEP_4) | instskip(SKIP_3) | instid1(VALU_DEP_4)
	v_fmac_f32_e32 v29, v19, v71
	v_sub_f32_e32 v19, v7, v37
	v_add_lshl_u32 v99, v50, v36, 3
	v_mul_f32_e32 v36, v27, v70
	v_sub_f32_e32 v13, v15, v29
	v_sub_f32_e32 v29, v33, v43
	v_fma_f32 v7, v7, 2.0, -v19
	s_delay_alu instid0(VALU_DEP_4) | instskip(SKIP_2) | instid1(VALU_DEP_3)
	v_fma_f32 v18, v26, v69, -v36
	v_fma_f32 v10, v10, 2.0, -v22
	v_fma_f32 v15, v15, 2.0, -v13
	v_sub_f32_e32 v18, v6, v18
	s_delay_alu instid0(VALU_DEP_1)
	v_fma_f32 v6, v6, 2.0, -v18
	ds_store_2addr_b64 v103, v[14:15], v[12:13] offset1:17
	ds_store_2addr_b64 v102, v[4:5], v[16:17] offset1:17
	;; [unrolled: 1-line block ×5, first 2 shown]
	s_and_saveexec_b32 s1, s0
	s_cbranch_execz .LBB0_11
; %bb.10:
	v_add_lshl_u32 v6, v50, v96, 3
	v_fma_f32 v5, v33, 2.0, -v29
	v_fma_f32 v4, v32, 2.0, -v28
	s_delay_alu instid0(VALU_DEP_3)
	v_add_nc_u32_e32 v6, 0x800, v6
	ds_store_2addr_b64 v6, v[4:5], v[28:29] offset0:152 offset1:169
.LBB0_11:
	s_wait_alu 0xfffe
	s_or_b32 exec_lo, exec_lo, s1
	v_mad_co_u64_u32 v[8:9], null, 0x60, v93, s[2:3]
	global_wb scope:SCOPE_SE
	s_wait_dscnt 0x0
	s_barrier_signal -1
	s_barrier_wait -1
	global_inv scope:SCOPE_SE
	s_clause 0x5
	global_load_b128 v[24:27], v[8:9], off offset:136
	global_load_b128 v[20:23], v[8:9], off offset:152
	;; [unrolled: 1-line block ×6, first 2 shown]
	ds_load_2addr_b64 v[30:33], v95 offset1:34
	ds_load_2addr_b64 v[41:44], v95 offset0:68 offset1:102
	ds_load_2addr_b64 v[49:52], v95 offset0:136 offset1:170
	s_wait_loadcnt_dscnt 0x502
	v_dual_mul_f32 v45, v33, v25 :: v_dual_add_nc_u32 v34, 0x800, v95
	ds_load_2addr_b64 v[73:76], v95 offset0:204 offset1:238
	ds_load_2addr_b64 v[77:80], v34 offset0:16 offset1:50
	;; [unrolled: 1-line block ×3, first 2 shown]
	ds_load_b64 v[53:54], v95 offset:3264
	s_wait_dscnt 0x5
	v_dual_mul_f32 v55, v32, v25 :: v_dual_mul_f32 v48, v42, v27
	s_wait_loadcnt 0x4
	v_dual_mul_f32 v85, v41, v27 :: v_dual_mul_f32 v86, v44, v21
	s_wait_dscnt 0x4
	v_dual_mul_f32 v87, v43, v21 :: v_dual_mul_f32 v88, v50, v23
	s_wait_loadcnt 0x3
	v_dual_mul_f32 v47, v49, v23 :: v_dual_mul_f32 v46, v51, v13
	v_mul_f32_e32 v89, v52, v13
	v_fma_f32 v109, v32, v24, -v45
	v_fma_f32 v110, v41, v26, -v48
	s_delay_alu instid0(VALU_DEP_4)
	v_dual_fmac_f32 v85, v42, v26 :: v_dual_fmac_f32 v46, v52, v12
	v_fma_f32 v49, v49, v22, -v88
	v_fma_f32 v86, v43, v20, -v86
	s_wait_dscnt 0x3
	v_dual_fmac_f32 v55, v33, v24 :: v_dual_mul_f32 v90, v74, v15
	s_wait_loadcnt_dscnt 0x102
	v_dual_mul_f32 v40, v77, v7 :: v_dual_mul_f32 v105, v80, v17
	s_wait_dscnt 0x1
	v_dual_mul_f32 v36, v79, v17 :: v_dual_mul_f32 v37, v81, v19
	s_wait_loadcnt_dscnt 0x0
	v_dual_mul_f32 v38, v83, v9 :: v_dual_mul_f32 v39, v53, v11
	v_mul_f32_e32 v108, v54, v11
	v_dual_mul_f32 v34, v73, v15 :: v_dual_mul_f32 v97, v76, v5
	v_dual_mul_f32 v35, v75, v5 :: v_dual_mul_f32 v104, v78, v7
	;; [unrolled: 1-line block ×3, first 2 shown]
	s_delay_alu instid0(VALU_DEP_3)
	v_dual_fmac_f32 v87, v44, v20 :: v_dual_fmac_f32 v34, v74, v14
	v_dual_fmac_f32 v47, v50, v22 :: v_dual_fmac_f32 v36, v80, v16
	v_fma_f32 v48, v51, v12, -v89
	v_fma_f32 v44, v79, v16, -v105
	;; [unrolled: 1-line block ×3, first 2 shown]
	v_fmac_f32_e32 v39, v54, v10
	v_dual_add_f32 v50, v30, v109 :: v_dual_add_f32 v51, v31, v55
	v_dual_fmac_f32 v35, v76, v4 :: v_dual_fmac_f32 v40, v78, v6
	v_fma_f32 v45, v77, v6, -v104
	v_fma_f32 v43, v81, v18, -v106
	v_dual_fmac_f32 v37, v82, v18 :: v_dual_fmac_f32 v38, v84, v8
	v_fma_f32 v42, v83, v8, -v107
	v_dual_add_f32 v52, v109, v41 :: v_dual_add_f32 v53, v55, v39
	v_dual_sub_f32 v54, v109, v41 :: v_dual_sub_f32 v55, v55, v39
	s_delay_alu instid0(VALU_DEP_4)
	v_add_f32_e32 v74, v85, v38
	v_sub_f32_e32 v83, v49, v44
	v_sub_f32_e32 v84, v47, v36
	v_dual_add_f32 v50, v50, v110 :: v_dual_add_f32 v51, v51, v85
	v_fma_f32 v32, v73, v14, -v90
	v_fma_f32 v33, v75, v4, -v97
	v_dual_add_f32 v73, v110, v42 :: v_dual_add_f32 v78, v87, v37
	v_dual_sub_f32 v75, v110, v42 :: v_dual_sub_f32 v80, v87, v37
	v_dual_sub_f32 v76, v85, v38 :: v_dual_add_f32 v77, v86, v43
	v_dual_sub_f32 v79, v86, v43 :: v_dual_add_f32 v82, v47, v36
	v_dual_add_f32 v89, v46, v40 :: v_dual_mul_f32 v104, 0xbeedf032, v54
	v_dual_sub_f32 v90, v48, v45 :: v_dual_sub_f32 v97, v46, v40
	v_mul_f32_e32 v106, 0xbf52af12, v54
	v_mul_f32_e32 v85, 0xbeedf032, v55
	s_delay_alu instid0(VALU_DEP_3)
	v_dual_mul_f32 v105, 0xbf52af12, v55 :: v_dual_mul_f32 v148, 0xbf52af12, v90
	v_dual_mul_f32 v107, 0xbf7e222b, v55 :: v_dual_mul_f32 v108, 0xbf7e222b, v54
	;; [unrolled: 1-line block ×10, first 2 shown]
	v_dual_add_f32 v51, v51, v87 :: v_dual_fmamk_f32 v154, v53, 0x3f116cb1, v106
	v_dual_add_f32 v81, v49, v44 :: v_dual_add_f32 v88, v48, v45
	v_dual_mul_f32 v55, 0xbe750f2a, v55 :: v_dual_mul_f32 v54, 0xbe750f2a, v54
	v_dual_mul_f32 v113, 0xbf52af12, v76 :: v_dual_mul_f32 v114, 0xbf52af12, v75
	;; [unrolled: 1-line block ×13, first 2 shown]
	v_dual_mul_f32 v147, 0xbf52af12, v97 :: v_dual_add_f32 v50, v50, v86
	v_fma_f32 v86, 0x3f62ad3f, v52, -v85
	v_dual_fmamk_f32 v87, v53, 0x3f62ad3f, v104 :: v_dual_fmamk_f32 v172, v74, 0x3f62ad3f, v75
	v_fmac_f32_e32 v85, 0x3f62ad3f, v52
	v_fma_f32 v104, 0x3f62ad3f, v53, -v104
	v_fma_f32 v153, 0x3f116cb1, v52, -v105
	v_fmac_f32_e32 v105, 0x3f116cb1, v52
	v_fma_f32 v155, 0x3df6dbef, v52, -v107
	v_dual_fmamk_f32 v156, v53, 0x3df6dbef, v108 :: v_dual_fmac_f32 v107, 0x3df6dbef, v52
	v_fma_f32 v108, 0x3df6dbef, v53, -v108
	v_fma_f32 v157, 0xbeb58ec6, v52, -v109
	v_dual_fmamk_f32 v158, v53, 0xbeb58ec6, v110 :: v_dual_fmac_f32 v109, 0xbeb58ec6, v52
	v_fma_f32 v159, 0xbf3f9e67, v52, -v111
	v_dual_fmamk_f32 v192, v82, 0x3f116cb1, v83 :: v_dual_add_f32 v47, v51, v47
	v_dual_mul_f32 v143, 0xbf29c268, v97 :: v_dual_mul_f32 v144, 0xbf29c268, v90
	v_dual_mul_f32 v145, 0x3f7e222b, v97 :: v_dual_mul_f32 v146, 0x3f7e222b, v90
	v_fma_f32 v106, 0x3f116cb1, v53, -v106
	v_fma_f32 v110, 0xbeb58ec6, v53, -v110
	v_dual_fmamk_f32 v160, v53, 0xbf3f9e67, v112 :: v_dual_fmac_f32 v111, 0xbf3f9e67, v52
	v_fma_f32 v112, 0xbf3f9e67, v53, -v112
	v_fma_f32 v161, 0xbf788fa5, v52, -v55
	v_dual_fmamk_f32 v162, v53, 0xbf788fa5, v54 :: v_dual_fmac_f32 v55, 0xbf788fa5, v52
	;; [unrolled: 3-line block ×3, first 2 shown]
	v_fmamk_f32 v180, v78, 0x3f116cb1, v132
	v_fma_f32 v114, 0x3f116cb1, v74, -v114
	v_fma_f32 v163, 0xbeb58ec6, v73, -v115
	v_dual_fmamk_f32 v164, v74, 0xbeb58ec6, v116 :: v_dual_fmac_f32 v115, 0xbeb58ec6, v73
	v_fma_f32 v116, 0xbeb58ec6, v74, -v116
	v_fma_f32 v165, 0xbf788fa5, v73, -v117
	v_dual_fmamk_f32 v166, v74, 0xbf788fa5, v118 :: v_dual_fmac_f32 v117, 0xbf788fa5, v73
	v_fma_f32 v118, 0xbf788fa5, v74, -v118
	v_fma_f32 v167, 0xbf3f9e67, v73, -v119
	v_dual_fmamk_f32 v168, v74, 0xbf3f9e67, v120 :: v_dual_fmac_f32 v119, 0xbf3f9e67, v73
	v_fma_f32 v120, 0xbf3f9e67, v74, -v120
	v_fma_f32 v169, 0x3df6dbef, v73, -v121
	v_dual_fmamk_f32 v170, v74, 0x3df6dbef, v122 :: v_dual_fmac_f32 v121, 0x3df6dbef, v73
	v_fma_f32 v122, 0x3df6dbef, v74, -v122
	v_fma_f32 v171, 0x3f62ad3f, v73, -v76
	v_fmac_f32_e32 v76, 0x3f62ad3f, v73
	v_fma_f32 v73, 0x3f62ad3f, v74, -v75
	v_fma_f32 v74, 0x3df6dbef, v77, -v123
	v_fmamk_f32 v75, v78, 0x3df6dbef, v124
	v_dual_fmac_f32 v123, 0x3df6dbef, v77 :: v_dual_fmamk_f32 v188, v82, 0x3df6dbef, v140
	v_fma_f32 v124, 0x3df6dbef, v78, -v124
	v_fma_f32 v173, 0xbf788fa5, v77, -v125
	v_dual_fmamk_f32 v174, v78, 0xbf788fa5, v126 :: v_dual_fmac_f32 v125, 0xbf788fa5, v77
	v_fma_f32 v126, 0xbf788fa5, v78, -v126
	v_fma_f32 v175, 0xbeb58ec6, v77, -v127
	v_dual_fmamk_f32 v176, v78, 0xbeb58ec6, v128 :: v_dual_fmac_f32 v127, 0xbeb58ec6, v77
	;; [unrolled: 3-line block ×3, first 2 shown]
	v_fma_f32 v130, 0x3f62ad3f, v78, -v130
	v_fma_f32 v179, 0x3f116cb1, v77, -v131
	v_dual_fmac_f32 v131, 0x3f116cb1, v77 :: v_dual_fmamk_f32 v196, v89, 0x3f116cb1, v148
	v_fma_f32 v132, 0x3f116cb1, v78, -v132
	v_fma_f32 v181, 0xbf3f9e67, v77, -v80
	v_fmamk_f32 v182, v78, 0xbf3f9e67, v79
	v_fmac_f32_e32 v80, 0xbf3f9e67, v77
	v_fma_f32 v77, 0xbf3f9e67, v78, -v79
	v_fma_f32 v78, 0xbeb58ec6, v81, -v133
	v_fmamk_f32 v79, v82, 0xbeb58ec6, v134
	v_fmac_f32_e32 v133, 0xbeb58ec6, v81
	v_add_f32_e32 v49, v50, v49
	v_add_f32_e32 v50, v30, v86
	v_dual_add_f32 v85, v30, v85 :: v_dual_add_f32 v108, v31, v108
	v_add_f32_e32 v86, v31, v104
	v_dual_add_f32 v104, v31, v154 :: v_dual_add_f32 v105, v30, v105
	v_add_f32_e32 v110, v31, v110
	v_add_f32_e32 v154, v31, v156
	v_dual_add_f32 v51, v31, v87 :: v_dual_add_f32 v48, v49, v48
	v_dual_add_f32 v87, v30, v153 :: v_dual_add_f32 v156, v31, v158
	;; [unrolled: 1-line block ×6, first 2 shown]
	v_add_f32_e32 v157, v30, v159
	v_fma_f32 v193, 0x3df6dbef, v88, -v145
	v_dual_fmac_f32 v145, 0x3df6dbef, v88 :: v_dual_add_f32 v106, v31, v106
	v_add_f32_e32 v111, v30, v111
	v_add_f32_e32 v159, v30, v161
	v_dual_add_f32 v30, v30, v55 :: v_dual_add_f32 v31, v31, v52
	v_add_f32_e32 v47, v53, v50
	v_dual_add_f32 v49, v54, v51 :: v_dual_add_f32 v50, v113, v85
	v_add_f32_e32 v52, v163, v87
	v_add_f32_e32 v54, v115, v105
	;; [unrolled: 1-line block ×4, first 2 shown]
	v_dual_add_f32 v105, v167, v155 :: v_dual_add_f32 v30, v76, v30
	v_dual_add_f32 v107, v119, v109 :: v_dual_add_f32 v48, v48, v32
	;; [unrolled: 1-line block ×3, first 2 shown]
	v_fma_f32 v134, 0xbeb58ec6, v82, -v134
	v_fma_f32 v183, 0xbf3f9e67, v81, -v135
	v_dual_fmamk_f32 v184, v82, 0xbf3f9e67, v136 :: v_dual_fmac_f32 v135, 0xbf3f9e67, v81
	v_fma_f32 v136, 0xbf3f9e67, v82, -v136
	v_fma_f32 v185, 0x3f62ad3f, v81, -v137
	v_dual_fmamk_f32 v186, v82, 0x3f62ad3f, v138 :: v_dual_fmac_f32 v137, 0x3f62ad3f, v81
	v_fma_f32 v138, 0x3f62ad3f, v82, -v138
	v_fma_f32 v187, 0x3df6dbef, v81, -v139
	v_dual_fmac_f32 v139, 0x3df6dbef, v81 :: v_dual_fmamk_f32 v194, v89, 0x3df6dbef, v146
	v_fma_f32 v140, 0x3df6dbef, v82, -v140
	v_fma_f32 v189, 0xbf788fa5, v81, -v141
	v_dual_fmamk_f32 v190, v82, 0xbf788fa5, v142 :: v_dual_fmac_f32 v141, 0xbf788fa5, v81
	v_fma_f32 v142, 0xbf788fa5, v82, -v142
	v_fma_f32 v191, 0x3f116cb1, v81, -v84
	v_fmac_f32_e32 v84, 0x3f116cb1, v81
	v_fma_f32 v81, 0x3f116cb1, v82, -v83
	v_fma_f32 v82, 0xbf3f9e67, v88, -v143
	v_fmamk_f32 v83, v89, 0xbf3f9e67, v144
	v_fmac_f32_e32 v143, 0xbf3f9e67, v88
	v_dual_add_f32 v51, v114, v86 :: v_dual_add_f32 v114, v172, v160
	v_dual_add_f32 v53, v164, v104 :: v_dual_add_f32 v86, v166, v154
	;; [unrolled: 1-line block ×3, first 2 shown]
	v_add_f32_e32 v104, v118, v108
	v_add_f32_e32 v106, v168, v156
	;; [unrolled: 1-line block ×3, first 2 shown]
	v_dual_add_f32 v110, v170, v158 :: v_dual_add_f32 v31, v73, v31
	s_delay_alu instid0(VALU_DEP_4) | instskip(NEXT) | instid1(VALU_DEP_3)
	v_dual_add_f32 v49, v75, v49 :: v_dual_add_f32 v76, v128, v104
	v_dual_add_f32 v73, v175, v85 :: v_dual_add_f32 v104, v130, v108
	v_add_f32_e32 v75, v127, v87
	v_dual_add_f32 v85, v177, v105 :: v_dual_add_f32 v30, v80, v30
	v_dual_add_f32 v87, v129, v107 :: v_dual_add_f32 v48, v48, v33
	;; [unrolled: 1-line block ×6, first 2 shown]
	s_delay_alu instid0(VALU_DEP_3)
	v_add_f32_e32 v54, v135, v54
	v_add_f32_e32 v49, v79, v49
	v_dual_add_f32 v79, v139, v87 :: v_dual_add_f32 v40, v46, v40
	v_fma_f32 v146, 0x3df6dbef, v89, -v146
	v_dual_add_f32 v51, v124, v51 :: v_dual_add_f32 v86, v178, v106
	v_dual_add_f32 v53, v174, v53 :: v_dual_add_f32 v106, v180, v110
	v_add_f32_e32 v47, v78, v47
	v_add_f32_e32 v55, v136, v55
	v_dual_add_f32 v31, v81, v31 :: v_dual_add_f32 v36, v40, v36
	v_dual_add_f32 v45, v48, v45 :: v_dual_add_f32 v40, v145, v54
	v_dual_mul_f32 v149, 0x3e750f2a, v97 :: v_dual_mul_f32 v150, 0x3e750f2a, v90
	v_fma_f32 v195, 0x3f116cb1, v88, -v147
	v_dual_fmac_f32 v147, 0x3f116cb1, v88 :: v_dual_add_f32 v74, v186, v74
	v_dual_add_f32 v77, v187, v85 :: v_dual_add_f32 v30, v84, v30
	v_dual_add_f32 v78, v188, v86 :: v_dual_add_f32 v85, v189, v105
	v_add_f32_e32 v46, v82, v47
	v_dual_add_f32 v86, v190, v106 :: v_dual_add_f32 v47, v83, v49
	v_dual_add_f32 v44, v45, v44 :: v_dual_add_f32 v45, v146, v55
	v_add_f32_e32 v36, v36, v37
	v_dual_mul_f32 v151, 0x3eedf032, v97 :: v_dual_mul_f32 v152, 0x3eedf032, v90
	v_fma_f32 v144, 0xbf3f9e67, v89, -v144
	v_fma_f32 v148, 0x3f116cb1, v89, -v148
	;; [unrolled: 1-line block ×3, first 2 shown]
	v_dual_fmamk_f32 v198, v89, 0xbf788fa5, v150 :: v_dual_fmac_f32 v149, 0xbf788fa5, v88
	v_dual_add_f32 v111, v121, v111 :: v_dual_add_f32 v50, v123, v50
	v_dual_add_f32 v113, v171, v159 :: v_dual_add_f32 v52, v173, v52
	v_add_f32_e32 v110, v182, v114
	v_dual_add_f32 v51, v134, v51 :: v_dual_add_f32 v80, v140, v104
	v_dual_add_f32 v53, v184, v53 :: v_dual_add_f32 v76, v138, v76
	s_delay_alu instid0(VALU_DEP_3)
	v_dual_add_f32 v75, v137, v75 :: v_dual_add_f32 v106, v192, v110
	v_add_f32_e32 v43, v44, v43
	v_add_f32_e32 v36, v36, v38
	v_fma_f32 v199, 0x3f62ad3f, v88, -v151
	v_dual_add_f32 v107, v131, v111 :: v_dual_add_f32 v50, v133, v50
	v_dual_add_f32 v109, v181, v113 :: v_dual_add_f32 v52, v183, v52
	;; [unrolled: 1-line block ×3, first 2 shown]
	v_add_f32_e32 v49, v144, v51
	v_dual_add_f32 v51, v194, v53 :: v_dual_add_f32 v54, v147, v75
	v_add_f32_e32 v53, v196, v74
	v_add_f32_e32 v55, v148, v76
	v_dual_add_f32 v75, v197, v77 :: v_dual_add_f32 v76, v198, v78
	v_add_f32_e32 v78, v199, v85
	v_dual_add_f32 v37, v43, v42 :: v_dual_add_f32 v74, v36, v39
	v_fmamk_f32 v36, v89, 0x3f62ad3f, v152
	v_dual_add_f32 v87, v141, v107 :: v_dual_add_f32 v48, v143, v50
	v_dual_add_f32 v105, v191, v109 :: v_dual_add_f32 v50, v193, v52
	;; [unrolled: 1-line block ×3, first 2 shown]
	v_mul_f32_e32 v38, 0xbf6f5d39, v90
	v_fmac_f32_e32 v151, 0x3f62ad3f, v88
	v_add_f32_e32 v73, v37, v41
	v_sub_f32_e32 v81, v34, v35
	v_add_f32_e32 v79, v36, v86
	v_fma_f32 v36, 0x3f62ad3f, v89, -v152
	v_mul_f32_e32 v37, 0xbf6f5d39, v97
	v_fma_f32 v150, 0xbf788fa5, v89, -v150
	v_sub_f32_e32 v86, v32, v33
	s_delay_alu instid0(VALU_DEP_4) | instskip(NEXT) | instid1(VALU_DEP_4)
	v_dual_mul_f32 v43, 0xbf29c268, v81 :: v_dual_add_f32 v82, v36, v104
	v_fma_f32 v39, 0xbeb58ec6, v88, -v37
	v_fmac_f32_e32 v37, 0xbeb58ec6, v88
	v_add_f32_e32 v85, v32, v33
	v_dual_add_f32 v41, v150, v80 :: v_dual_fmamk_f32 v42, v89, 0xbeb58ec6, v38
	s_delay_alu instid0(VALU_DEP_4)
	v_add_f32_e32 v83, v39, v105
	v_mul_f32_e32 v39, 0xbe750f2a, v81
	v_fma_f32 v32, 0xbeb58ec6, v89, -v38
	v_add_f32_e32 v30, v37, v30
	v_fma_f32 v44, 0xbf3f9e67, v85, -v43
	v_add_f32_e32 v84, v42, v106
	;; [unrolled: 2-line block ×3, first 2 shown]
	v_dual_add_f32 v87, v34, v35 :: v_dual_mul_f32 v42, 0x3eedf032, v86
	v_mul_f32_e32 v34, 0xbe750f2a, v86
	s_delay_alu instid0(VALU_DEP_4)
	v_dual_add_f32 v36, v33, v46 :: v_dual_fmac_f32 v39, 0xbf788fa5, v85
	v_add_f32_e32 v44, v44, v52
	v_dual_add_f32 v31, v32, v31 :: v_dual_mul_f32 v32, 0x3eedf032, v81
	v_mul_f32_e32 v46, 0xbf29c268, v86
	v_fma_f32 v35, 0xbf788fa5, v87, -v34
	v_lshl_add_u32 v97, v93, 3, v94
	s_delay_alu instid0(VALU_DEP_4)
	v_fma_f32 v38, 0x3f62ad3f, v85, -v32
	v_fmac_f32_e32 v32, 0x3f62ad3f, v85
	v_fmamk_f32 v33, v87, 0xbf788fa5, v34
	v_add_f32_e32 v34, v39, v48
	v_mul_f32_e32 v48, 0x3f52af12, v81
	v_add_f32_e32 v38, v38, v50
	s_delay_alu instid0(VALU_DEP_4) | instskip(SKIP_4) | instid1(VALU_DEP_4)
	v_dual_add_f32 v32, v32, v40 :: v_dual_add_f32 v37, v33, v47
	v_fmamk_f32 v33, v87, 0x3f62ad3f, v42
	v_fma_f32 v42, 0x3f62ad3f, v87, -v42
	v_fmamk_f32 v40, v87, 0xbf3f9e67, v46
	v_mul_f32_e32 v47, 0x3f52af12, v86
	v_dual_mul_f32 v50, 0xbf6f5d39, v81 :: v_dual_add_f32 v39, v33, v51
	s_delay_alu instid0(VALU_DEP_4)
	v_add_f32_e32 v33, v42, v45
	v_fma_f32 v46, 0xbf3f9e67, v87, -v46
	ds_store_b64 v97, v[73:74]
	v_fma_f32 v51, 0xbeb58ec6, v85, -v50
	v_fmac_f32_e32 v50, 0xbeb58ec6, v85
	v_fmac_f32_e32 v43, 0xbf3f9e67, v85
	v_add_f32_e32 v45, v40, v53
	v_fma_f32 v40, 0x3f116cb1, v85, -v48
	v_add_f32_e32 v35, v35, v49
	v_fma_f32 v49, 0x3f116cb1, v87, -v47
	v_mul_f32_e32 v52, 0xbf6f5d39, v86
	v_dual_add_f32 v42, v43, v54 :: v_dual_add_f32 v43, v46, v55
	v_add_f32_e32 v46, v40, v75
	s_delay_alu instid0(VALU_DEP_4) | instskip(NEXT) | instid1(VALU_DEP_4)
	v_dual_fmamk_f32 v40, v87, 0x3f116cb1, v47 :: v_dual_add_f32 v41, v49, v41
	v_fmamk_f32 v49, v87, 0xbeb58ec6, v52
	v_fmac_f32_e32 v48, 0x3f116cb1, v85
	v_mul_f32_e32 v53, 0x3f7e222b, v86
	s_delay_alu instid0(VALU_DEP_4) | instskip(NEXT) | instid1(VALU_DEP_3)
	v_add_f32_e32 v47, v40, v76
	v_dual_add_f32 v49, v49, v79 :: v_dual_add_f32 v40, v48, v77
	v_add_f32_e32 v48, v51, v78
	v_fma_f32 v51, 0xbeb58ec6, v87, -v52
	s_delay_alu instid0(VALU_DEP_1) | instskip(SKIP_1) | instid1(VALU_DEP_2)
	v_dual_mul_f32 v52, 0x3f7e222b, v81 :: v_dual_add_f32 v55, v51, v82
	v_add_f32_e32 v54, v50, v80
	v_fma_f32 v50, 0x3df6dbef, v85, -v52
	v_dual_fmamk_f32 v51, v87, 0x3df6dbef, v53 :: v_dual_fmac_f32 v52, 0x3df6dbef, v85
	v_fma_f32 v53, 0x3df6dbef, v87, -v53
	s_delay_alu instid0(VALU_DEP_2) | instskip(NEXT) | instid1(VALU_DEP_2)
	v_dual_add_f32 v50, v50, v83 :: v_dual_add_f32 v51, v51, v84
	v_dual_add_f32 v52, v52, v30 :: v_dual_add_f32 v53, v53, v31
	v_add_nc_u32_e32 v30, 0x400, v97
	v_add_nc_u32_e32 v31, 0x800, v97
	ds_store_2addr_b64 v97, v[36:37], v[38:39] offset0:34 offset1:68
	ds_store_2addr_b64 v97, v[44:45], v[46:47] offset0:102 offset1:136
	;; [unrolled: 1-line block ×6, first 2 shown]
	global_wb scope:SCOPE_SE
	s_wait_dscnt 0x0
	s_barrier_signal -1
	s_barrier_wait -1
	global_inv scope:SCOPE_SE
	s_and_saveexec_b32 s1, vcc_lo
	s_cbranch_execz .LBB0_13
; %bb.12:
	global_load_b64 v[75:76], v92, s[12:13] offset:3536
	s_add_nc_u64 s[2:3], s[12:13], 0xdd0
	s_clause 0xf
	global_load_b64 v[120:121], v92, s[2:3] offset:208
	global_load_b64 v[122:123], v92, s[2:3] offset:416
	;; [unrolled: 1-line block ×16, first 2 shown]
	ds_load_b64 v[77:78], v97
	s_wait_loadcnt_dscnt 0x1000
	v_mul_f32_e32 v79, v78, v76
	v_mul_f32_e32 v80, v77, v76
	s_delay_alu instid0(VALU_DEP_2) | instskip(NEXT) | instid1(VALU_DEP_2)
	v_fma_f32 v79, v77, v75, -v79
	v_fmac_f32_e32 v80, v78, v75
	ds_store_b64 v97, v[79:80]
	ds_load_2addr_b64 v[75:78], v97 offset0:26 offset1:52
	ds_load_2addr_b64 v[79:82], v97 offset0:78 offset1:104
	;; [unrolled: 1-line block ×8, first 2 shown]
	s_wait_loadcnt_dscnt 0xf07
	v_mul_f32_e32 v153, v76, v121
	v_mul_f32_e32 v152, v75, v121
	s_wait_loadcnt_dscnt 0xd06
	v_dual_mul_f32 v154, v78, v123 :: v_dual_mul_f32 v155, v80, v125
	v_mul_f32_e32 v121, v77, v123
	s_delay_alu instid0(VALU_DEP_3)
	v_dual_mul_f32 v123, v79, v125 :: v_dual_fmac_f32 v152, v76, v120
	s_wait_loadcnt_dscnt 0xb05
	v_dual_mul_f32 v156, v82, v127 :: v_dual_mul_f32 v157, v84, v129
	v_mul_f32_e32 v125, v81, v127
	s_wait_loadcnt 0xa
	v_dual_mul_f32 v127, v83, v129 :: v_dual_mul_f32 v158, v86, v131
	v_mul_f32_e32 v129, v85, v131
	s_wait_loadcnt_dscnt 0x804
	v_dual_mul_f32 v159, v88, v133 :: v_dual_mul_f32 v160, v90, v135
	v_mul_f32_e32 v131, v87, v133
	v_mul_f32_e32 v133, v89, v135
	s_wait_loadcnt_dscnt 0x603
	v_dual_mul_f32 v161, v105, v137 :: v_dual_mul_f32 v162, v107, v139
	s_wait_loadcnt_dscnt 0x402
	v_dual_mul_f32 v135, v104, v137 :: v_dual_mul_f32 v164, v111, v143
	v_mul_f32_e32 v137, v106, v139
	s_wait_loadcnt_dscnt 0x201
	v_dual_mul_f32 v163, v109, v141 :: v_dual_mul_f32 v166, v115, v147
	s_wait_loadcnt_dscnt 0x0
	v_dual_mul_f32 v139, v108, v141 :: v_dual_mul_f32 v168, v119, v151
	v_mul_f32_e32 v141, v110, v143
	v_mul_f32_e32 v165, v113, v145
	;; [unrolled: 1-line block ×7, first 2 shown]
	v_fma_f32 v151, v75, v120, -v153
	v_fma_f32 v120, v77, v122, -v154
	v_fmac_f32_e32 v121, v78, v122
	v_fma_f32 v122, v79, v124, -v155
	v_fmac_f32_e32 v123, v80, v124
	;; [unrolled: 2-line block ×15, first 2 shown]
	ds_store_2addr_b64 v97, v[151:152], v[120:121] offset0:26 offset1:52
	ds_store_2addr_b64 v97, v[122:123], v[124:125] offset0:78 offset1:104
	;; [unrolled: 1-line block ×8, first 2 shown]
.LBB0_13:
	s_wait_alu 0xfffe
	s_or_b32 exec_lo, exec_lo, s1
	global_wb scope:SCOPE_SE
	s_wait_dscnt 0x0
	s_barrier_signal -1
	s_barrier_wait -1
	global_inv scope:SCOPE_SE
	s_and_saveexec_b32 s1, vcc_lo
	s_cbranch_execz .LBB0_15
; %bb.14:
	v_add_nc_u32_e32 v32, 0x800, v97
	ds_load_b64 v[73:74], v97
	ds_load_2addr_b64 v[28:31], v32 offset0:82 offset1:108
	s_wait_dscnt 0x0
	v_dual_mov_b32 v58, v31 :: v_dual_add_nc_u32 v33, 0x400, v97
	v_mov_b32_e32 v57, v30
	ds_load_2addr_b64 v[0:3], v32 offset0:134 offset1:160
	ds_load_2addr_b64 v[36:39], v97 offset0:26 offset1:52
	;; [unrolled: 1-line block ×7, first 2 shown]
.LBB0_15:
	s_wait_alu 0xfffe
	s_or_b32 exec_lo, exec_lo, s1
	s_wait_dscnt 0x5
	v_dual_sub_f32 v120, v37, v3 :: v_dual_add_f32 v125, v3, v37
	v_dual_add_f32 v104, v2, v36 :: v_dual_add_f32 v105, v0, v38
	s_delay_alu instid0(VALU_DEP_2) | instskip(NEXT) | instid1(VALU_DEP_3)
	v_dual_sub_f32 v106, v36, v2 :: v_dual_mul_f32 v85, 0xbf7ee86f, v120
	v_dual_mul_f32 v86, 0x3dbcf732, v125 :: v_dual_add_f32 v127, v1, v39
	v_sub_f32_e32 v107, v38, v0
	s_wait_dscnt 0x4
	v_dual_sub_f32 v123, v47, v29 :: v_dual_add_f32 v110, v28, v46
	v_fma_f32 v30, 0x3dbcf732, v104, -v85
	v_dual_sub_f32 v121, v39, v1 :: v_dual_mul_f32 v90, 0xbf7ba420, v127
	v_dual_sub_f32 v122, v45, v58 :: v_dual_mul_f32 v157, 0xbf59a7d5, v127
	v_add_f32_e32 v108, v57, v44
	s_delay_alu instid0(VALU_DEP_3) | instskip(NEXT) | instid1(VALU_DEP_3)
	v_dual_add_f32 v30, v73, v30 :: v_dual_mul_f32 v87, 0xbe3c28d5, v121
	v_dual_add_f32 v129, v58, v45 :: v_dual_fmamk_f32 v78, v107, 0x3f06c442, v157
	s_wait_dscnt 0x0
	v_dual_mul_f32 v178, 0xbf65296c, v123 :: v_dual_add_f32 v135, v35, v49
	s_delay_alu instid0(VALU_DEP_3) | instskip(SKIP_1) | instid1(VALU_DEP_3)
	v_fma_f32 v77, 0xbf7ba420, v105, -v87
	v_dual_fmamk_f32 v31, v106, 0xbf7ee86f, v86 :: v_dual_add_f32 v132, v29, v47
	v_dual_sub_f32 v126, v51, v33 :: v_dual_mul_f32 v173, 0x3ee437d1, v135
	s_delay_alu instid0(VALU_DEP_3) | instskip(NEXT) | instid1(VALU_DEP_3)
	v_add_f32_e32 v30, v77, v30
	v_dual_mul_f32 v84, 0xbe8c1d8e, v125 :: v_dual_add_f32 v31, v74, v31
	v_mul_f32_e32 v83, 0xbf763a35, v120
	v_fmamk_f32 v77, v107, 0xbe3c28d5, v90
	v_mul_f32_e32 v88, 0x3f763a35, v122
	s_delay_alu instid0(VALU_DEP_4)
	v_fmamk_f32 v76, v106, 0xbf763a35, v84
	v_mul_f32_e32 v172, 0x3f06c442, v121
	v_fma_f32 v75, 0xbe8c1d8e, v104, -v83
	v_add_f32_e32 v31, v77, v31
	v_fma_f32 v79, 0xbe8c1d8e, v108, -v88
	v_add_f32_e32 v76, v74, v76
	;; [unrolled: 2-line block ×3, first 2 shown]
	v_sub_f32_e32 v109, v44, v57
	v_mul_f32_e32 v156, 0xbe8c1d8e, v129
	v_add_f32_e32 v76, v78, v76
	s_delay_alu instid0(VALU_DEP_4) | instskip(SKIP_1) | instid1(VALU_DEP_4)
	v_dual_add_f32 v30, v79, v30 :: v_dual_add_f32 v75, v77, v75
	v_mul_f32_e32 v175, 0x3f2c7751, v122
	v_fmamk_f32 v77, v109, 0x3f763a35, v156
	v_mul_f32_e32 v161, 0x3f3d2fb0, v129
	v_mul_f32_e32 v89, 0x3eb8f4ab, v123
	v_dual_mul_f32 v167, 0x3f6eb680, v132 :: v_dual_sub_f32 v124, v49, v35
	s_delay_alu instid0(VALU_DEP_4) | instskip(SKIP_3) | instid1(VALU_DEP_3)
	v_dual_add_f32 v31, v77, v31 :: v_dual_mul_f32 v182, 0x3ee437d1, v132
	v_fma_f32 v77, 0x3f3d2fb0, v108, -v175
	v_dual_fmamk_f32 v78, v109, 0x3f2c7751, v161 :: v_dual_sub_f32 v111, v46, v28
	v_fma_f32 v79, 0x3f6eb680, v110, -v89
	v_dual_add_f32 v112, v34, v48 :: v_dual_add_f32 v75, v77, v75
	v_mul_f32_e32 v154, 0xbf65296c, v124
	s_delay_alu instid0(VALU_DEP_4) | instskip(NEXT) | instid1(VALU_DEP_4)
	v_add_f32_e32 v76, v78, v76
	v_add_f32_e32 v30, v79, v30
	v_fmamk_f32 v79, v111, 0xbf65296c, v182
	v_sub_f32_e32 v113, v48, v34
	v_fma_f32 v80, 0x3ee437d1, v112, -v154
	v_dual_fmamk_f32 v77, v111, 0x3eb8f4ab, v167 :: v_dual_add_f32 v114, v32, v50
	v_dual_mul_f32 v171, 0xbf06c442, v126 :: v_dual_sub_f32 v128, v53, v43
	s_delay_alu instid0(VALU_DEP_2) | instskip(SKIP_2) | instid1(VALU_DEP_4)
	v_dual_add_f32 v30, v80, v30 :: v_dual_add_f32 v31, v77, v31
	v_dual_add_f32 v76, v79, v76 :: v_dual_mul_f32 v185, 0xbf7ba420, v135
	v_add_f32_e32 v116, v42, v52
	v_fma_f32 v80, 0xbf59a7d5, v114, -v171
	v_fmamk_f32 v77, v113, 0xbf65296c, v173
	v_fma_f32 v78, 0x3ee437d1, v110, -v178
	v_dual_mul_f32 v181, 0xbe3c28d5, v124 :: v_dual_add_f32 v130, v33, v51
	v_dual_fmamk_f32 v79, v113, 0xbe3c28d5, v185 :: v_dual_add_f32 v118, v40, v54
	s_delay_alu instid0(VALU_DEP_4) | instskip(NEXT) | instid1(VALU_DEP_4)
	v_dual_add_f32 v30, v80, v30 :: v_dual_add_f32 v31, v77, v31
	v_dual_mul_f32 v174, 0x3f4c4adb, v128 :: v_dual_add_f32 v75, v78, v75
	s_delay_alu instid0(VALU_DEP_3) | instskip(SKIP_2) | instid1(VALU_DEP_4)
	v_add_f32_e32 v76, v79, v76
	v_fma_f32 v78, 0xbf7ba420, v112, -v181
	v_mul_f32_e32 v187, 0x3dbcf732, v130
	v_fma_f32 v79, 0xbf1a4643, v116, -v174
	v_sub_f32_e32 v115, v50, v32
	v_sub_f32_e32 v131, v55, v41
	v_dual_add_f32 v75, v78, v75 :: v_dual_mul_f32 v184, 0xbeb8f4ab, v128
	s_delay_alu instid0(VALU_DEP_4) | instskip(NEXT) | instid1(VALU_DEP_4)
	v_add_f32_e32 v30, v79, v30
	v_dual_mul_f32 v183, 0x3f7ee86f, v126 :: v_dual_fmamk_f32 v78, v115, 0x3f7ee86f, v187
	v_mul_f32_e32 v177, 0xbf59a7d5, v130
	v_dual_add_f32 v133, v43, v53 :: v_dual_mul_f32 v176, 0x3f2c7751, v131
	v_add_f32_e32 v134, v41, v55
	s_delay_alu instid0(VALU_DEP_3) | instskip(SKIP_1) | instid1(VALU_DEP_3)
	v_dual_add_f32 v76, v78, v76 :: v_dual_fmamk_f32 v77, v115, 0xbf06c442, v177
	v_fma_f32 v80, 0x3f6eb680, v116, -v184
	v_dual_sub_f32 v119, v54, v40 :: v_dual_mul_f32 v180, 0x3f3d2fb0, v134
	v_dual_sub_f32 v117, v52, v42 :: v_dual_mul_f32 v186, 0xbf4c4adb, v131
	s_delay_alu instid0(VALU_DEP_4)
	v_dual_add_f32 v31, v77, v31 :: v_dual_mul_f32 v188, 0x3f6eb680, v133
	v_fma_f32 v77, 0x3dbcf732, v114, -v183
	v_mul_f32_e32 v189, 0xbf1a4643, v134
	v_fmamk_f32 v78, v119, 0x3f2c7751, v180
	v_mul_f32_e32 v179, 0xbf1a4643, v133
	v_fma_f32 v79, 0xbf1a4643, v118, -v186
	v_add_f32_e32 v75, v77, v75
	global_wb scope:SCOPE_SE
	s_barrier_signal -1
	s_barrier_wait -1
	global_inv scope:SCOPE_SE
	v_dual_add_f32 v75, v80, v75 :: v_dual_fmamk_f32 v80, v119, 0xbf4c4adb, v189
	v_fmamk_f32 v77, v117, 0x3f4c4adb, v179
	s_delay_alu instid0(VALU_DEP_2) | instskip(NEXT) | instid1(VALU_DEP_2)
	v_add_f32_e32 v75, v79, v75
	v_add_f32_e32 v31, v77, v31
	s_delay_alu instid0(VALU_DEP_1) | instskip(NEXT) | instid1(VALU_DEP_1)
	v_dual_fmamk_f32 v77, v117, 0xbeb8f4ab, v188 :: v_dual_add_f32 v78, v78, v31
	v_add_f32_e32 v76, v77, v76
	v_fma_f32 v77, 0x3f3d2fb0, v118, -v176
	s_delay_alu instid0(VALU_DEP_1)
	v_dual_add_f32 v77, v77, v30 :: v_dual_add_f32 v76, v80, v76
	s_and_saveexec_b32 s1, vcc_lo
	s_cbranch_execz .LBB0_17
; %bb.16:
	v_mul_f32_e32 v147, 0xbf06c442, v120
	v_dual_mul_f32 v80, 0x3f65296c, v107 :: v_dual_mul_f32 v155, 0x3f65296c, v121
	v_mul_f32_e32 v159, 0xbf7ee86f, v122
	v_dual_mul_f32 v79, 0xbf06c442, v106 :: v_dual_mul_f32 v210, 0xbf06c442, v115
	s_delay_alu instid0(VALU_DEP_4)
	v_fma_f32 v136, 0xbf59a7d5, v104, -v147
	v_mul_f32_e32 v191, 0xbf7ee86f, v106
	v_fma_f32 v137, 0x3ee437d1, v105, -v155
	v_mul_f32_e32 v164, 0x3f4c4adb, v123
	v_dual_mul_f32 v195, 0xbf59a7d5, v105 :: v_dual_fmamk_f32 v30, v125, 0xbf59a7d5, v79
	v_dual_add_f32 v136, v73, v136 :: v_dual_mul_f32 v201, 0x3f6eb680, v110
	v_dual_mul_f32 v153, 0xbeb8f4ab, v113 :: v_dual_mul_f32 v166, 0xbeb8f4ab, v124
	s_delay_alu instid0(VALU_DEP_3) | instskip(NEXT) | instid1(VALU_DEP_3)
	v_dual_mul_f32 v193, 0xbf7ba420, v105 :: v_dual_add_f32 v30, v74, v30
	v_add_f32_e32 v136, v137, v136
	v_fma_f32 v137, 0x3dbcf732, v108, -v159
	v_mul_f32_e32 v203, 0x3ee437d1, v110
	v_mul_f32_e32 v81, 0xbf7ee86f, v109
	v_fma_f32 v138, 0x3f6eb680, v112, -v166
	v_mul_f32_e32 v148, 0x3eb8f4ab, v121
	v_add_f32_e32 v136, v137, v136
	v_fma_f32 v137, 0xbf1a4643, v110, -v164
	v_mul_f32_e32 v209, 0xbf59a7d5, v114
	v_mul_f32_e32 v82, 0x3f4c4adb, v111
	v_fmamk_f32 v150, v105, 0x3f6eb680, v148
	v_dual_mul_f32 v200, 0x3f2c7751, v109 :: v_dual_mul_f32 v169, 0x3f2c7751, v128
	v_dual_add_f32 v136, v137, v136 :: v_dual_fmamk_f32 v31, v127, 0x3ee437d1, v80
	v_mul_f32_e32 v137, 0x3f6eb680, v127
	v_mul_f32_e32 v217, 0x3f3d2fb0, v118
	s_delay_alu instid0(VALU_DEP_4) | instskip(NEXT) | instid1(VALU_DEP_4)
	v_fma_f32 v141, 0x3f3d2fb0, v116, -v169
	v_add_f32_e32 v136, v138, v136
	v_dual_mul_f32 v197, 0xbe8c1d8e, v108 :: v_dual_add_f32 v30, v31, v30
	v_fmamk_f32 v140, v107, 0xbeb8f4ab, v137
	v_fmamk_f32 v31, v129, 0x3dbcf732, v81
	v_mul_f32_e32 v199, 0x3f3d2fb0, v108
	v_fmac_f32_e32 v159, 0x3dbcf732, v108
	v_mul_f32_e32 v158, 0xbe3c28d5, v115
	s_delay_alu instid0(VALU_DEP_4)
	v_dual_fmac_f32 v169, 0x3f3d2fb0, v116 :: v_dual_add_f32 v30, v31, v30
	v_fmamk_f32 v31, v132, 0xbf1a4643, v82
	v_fma_f32 v82, 0xbf1a4643, v132, -v82
	v_mul_f32_e32 v168, 0xbe3c28d5, v126
	v_mul_f32_e32 v205, 0x3ee437d1, v112
	;; [unrolled: 1-line block ×3, first 2 shown]
	v_add_f32_e32 v30, v31, v30
	v_fma_f32 v79, 0xbf59a7d5, v125, -v79
	v_fma_f32 v139, 0xbf7ba420, v114, -v168
	v_mul_f32_e32 v196, 0x3f06c442, v107
	v_dual_mul_f32 v152, 0xbf763a35, v106 :: v_dual_mul_f32 v165, 0xbf763a35, v119
	s_delay_alu instid0(VALU_DEP_4) | instskip(NEXT) | instid1(VALU_DEP_4)
	v_dual_mul_f32 v206, 0xbf65296c, v113 :: v_dual_add_f32 v79, v74, v79
	v_add_f32_e32 v139, v139, v136
	v_mul_f32_e32 v136, 0x3f3d2fb0, v132
	v_mul_f32_e32 v149, 0xbf06c442, v122
	v_fma_f32 v80, 0x3ee437d1, v127, -v80
	v_mul_f32_e32 v192, 0xbe8c1d8e, v104
	v_mul_f32_e32 v208, 0xbe3c28d5, v113
	v_fmamk_f32 v144, v111, 0xbf2c7751, v136
	v_fmamk_f32 v31, v135, 0x3f6eb680, v153
	v_mul_f32_e32 v207, 0xbf7ba420, v112
	v_dual_mul_f32 v138, 0xbf59a7d5, v129 :: v_dual_fmamk_f32 v151, v108, 0xbf59a7d5, v149
	s_delay_alu instid0(VALU_DEP_3)
	v_dual_mul_f32 v143, 0xbf7ba420, v125 :: v_dual_add_f32 v30, v31, v30
	v_fmamk_f32 v31, v130, 0xbf7ba420, v158
	v_mul_f32_e32 v213, 0xbf1a4643, v116
	v_add_f32_e32 v79, v80, v79
	v_mul_f32_e32 v221, 0xbf763a35, v131
	v_dual_mul_f32 v198, 0x3f763a35, v109 :: v_dual_add_f32 v141, v141, v139
	v_dual_add_f32 v30, v31, v30 :: v_dual_fmamk_f32 v31, v133, 0x3f3d2fb0, v160
	s_delay_alu instid0(VALU_DEP_3)
	v_fma_f32 v142, 0xbe8c1d8e, v118, -v221
	v_mul_f32_e32 v146, 0xbe3c28d5, v120
	v_mul_f32_e32 v219, 0xbf1a4643, v118
	;; [unrolled: 1-line block ×3, first 2 shown]
	v_dual_add_f32 v30, v31, v30 :: v_dual_fmamk_f32 v31, v134, 0xbe8c1d8e, v165
	v_fma_f32 v80, 0x3dbcf732, v129, -v81
	v_mul_f32_e32 v194, 0xbe3c28d5, v107
	v_dual_mul_f32 v214, 0x3f4c4adb, v117 :: v_dual_sub_f32 v161, v161, v200
	s_delay_alu instid0(VALU_DEP_4) | instskip(NEXT) | instid1(VALU_DEP_4)
	v_add_f32_e32 v31, v31, v30
	v_dual_add_f32 v79, v80, v79 :: v_dual_fmamk_f32 v30, v106, 0x3e3c28d5, v143
	v_mul_f32_e32 v215, 0x3f6eb680, v116
	v_fmac_f32_e32 v166, 0x3f6eb680, v112
	v_dual_mul_f32 v190, 0x3dbcf732, v104 :: v_dual_mul_f32 v211, 0x3dbcf732, v114
	s_delay_alu instid0(VALU_DEP_4)
	v_add_f32_e32 v30, v74, v30
	v_add_f32_e32 v79, v82, v79
	v_fma_f32 v82, 0x3f6eb680, v135, -v153
	v_fmac_f32_e32 v168, 0xbf7ba420, v114
	v_dual_fmac_f32 v155, 0x3ee437d1, v105 :: v_dual_add_f32 v172, v195, v172
	v_add_f32_e32 v85, v190, v85
	s_delay_alu instid0(VALU_DEP_4)
	v_dual_add_f32 v79, v82, v79 :: v_dual_add_f32 v30, v140, v30
	v_fmamk_f32 v140, v109, 0x3f06c442, v138
	v_sub_f32_e32 v86, v86, v191
	v_add_f32_e32 v88, v197, v88
	v_sub_f32_e32 v90, v90, v194
	v_sub_f32_e32 v156, v156, v198
	v_add_f32_e32 v140, v140, v30
	v_dual_add_f32 v30, v142, v141 :: v_dual_fmamk_f32 v141, v104, 0xbf7ba420, v146
	v_mul_f32_e32 v202, 0x3eb8f4ab, v111
	v_fmac_f32_e32 v147, 0xbf59a7d5, v104
	s_delay_alu instid0(VALU_DEP_4) | instskip(NEXT) | instid1(VALU_DEP_4)
	v_add_f32_e32 v142, v144, v140
	v_dual_mul_f32 v198, 0xbf4c4adb, v122 :: v_dual_add_f32 v145, v73, v141
	v_mul_f32_e32 v141, 0xbe8c1d8e, v133
	v_sub_f32_e32 v185, v185, v208
	v_mul_f32_e32 v190, 0xbf7ba420, v132
	v_fmac_f32_e32 v138, 0xbf06c442, v109
	v_dual_add_f32 v150, v150, v145 :: v_dual_mul_f32 v145, 0x3f2c7751, v123
	v_dual_fmamk_f32 v162, v117, 0x3f763a35, v141 :: v_dual_add_f32 v175, v199, v175
	s_delay_alu instid0(VALU_DEP_2) | instskip(NEXT) | instid1(VALU_DEP_3)
	v_dual_sub_f32 v157, v157, v196 :: v_dual_add_f32 v150, v151, v150
	v_fmamk_f32 v163, v110, 0x3f3d2fb0, v145
	v_mul_f32_e32 v151, 0xbf4c4adb, v124
	v_mul_f32_e32 v139, 0xbf1a4643, v135
	;; [unrolled: 1-line block ×3, first 2 shown]
	v_add_f32_e32 v83, v192, v83
	s_delay_alu instid0(VALU_DEP_4) | instskip(NEXT) | instid1(VALU_DEP_4)
	v_dual_add_f32 v163, v163, v150 :: v_dual_fmamk_f32 v170, v112, 0xbf1a4643, v151
	v_fmamk_f32 v144, v113, 0x3f4c4adb, v139
	v_mul_f32_e32 v150, 0x3f65296c, v126
	s_delay_alu instid0(VALU_DEP_4) | instskip(NEXT) | instid1(VALU_DEP_3)
	v_dual_mul_f32 v140, 0x3ee437d1, v130 :: v_dual_add_f32 v83, v73, v83
	v_dual_add_f32 v87, v193, v87 :: v_dual_add_f32 v142, v144, v142
	v_sub_f32_e32 v84, v84, v152
	s_delay_alu instid0(VALU_DEP_3) | instskip(NEXT) | instid1(VALU_DEP_4)
	v_fmamk_f32 v144, v115, 0xbf65296c, v140
	v_add_f32_e32 v172, v172, v83
	v_dual_sub_f32 v182, v182, v204 :: v_dual_add_f32 v85, v73, v85
	s_delay_alu instid0(VALU_DEP_4) | instskip(NEXT) | instid1(VALU_DEP_4)
	v_add_f32_e32 v84, v74, v84
	v_add_f32_e32 v144, v144, v142
	v_mul_f32_e32 v142, 0x3dbcf732, v134
	v_mul_f32_e32 v212, 0x3f7ee86f, v115
	v_add_f32_e32 v172, v175, v172
	v_add_f32_e32 v175, v203, v178
	s_delay_alu instid0(VALU_DEP_4)
	v_dual_add_f32 v81, v162, v144 :: v_dual_fmamk_f32 v144, v119, 0xbf7ee86f, v142
	v_add_f32_e32 v162, v170, v163
	v_fmamk_f32 v163, v114, 0x3ee437d1, v150
	v_mul_f32_e32 v216, 0xbeb8f4ab, v117
	v_mul_f32_e32 v170, 0xbeb8f4ab, v122
	v_dual_add_f32 v80, v144, v81 :: v_dual_fmac_f32 v221, 0xbe8c1d8e, v118
	s_delay_alu instid0(VALU_DEP_4)
	v_add_f32_e32 v81, v163, v162
	v_mul_f32_e32 v163, 0xbe8c1d8e, v127
	v_mul_f32_e32 v144, 0xbf763a35, v128
	v_add_f32_e32 v162, v73, v147
	v_mul_f32_e32 v218, 0x3f2c7751, v119
	v_mul_f32_e32 v147, 0x3f7ee86f, v131
	v_fmamk_f32 v224, v108, 0x3f6eb680, v170
	v_dual_fmamk_f32 v153, v116, 0xbe8c1d8e, v144 :: v_dual_add_f32 v172, v175, v172
	v_add_f32_e32 v175, v207, v181
	v_dual_sub_f32 v181, v189, v220 :: v_dual_add_f32 v86, v74, v86
	s_delay_alu instid0(VALU_DEP_3) | instskip(SKIP_4) | instid1(VALU_DEP_4)
	v_add_f32_e32 v81, v153, v81
	v_add_f32_e32 v153, v155, v162
	v_fmamk_f32 v155, v118, 0x3dbcf732, v147
	v_mul_f32_e32 v162, 0xbf1a4643, v125
	v_dual_add_f32 v90, v90, v86 :: v_dual_mul_f32 v189, 0xbf7ee86f, v128
	v_add_f32_e32 v153, v159, v153
	v_fma_f32 v82, 0xbf7ba420, v130, -v158
	v_fma_f32 v158, 0x3f3d2fb0, v133, -v160
	s_delay_alu instid0(VALU_DEP_4) | instskip(SKIP_1) | instid1(VALU_DEP_4)
	v_dual_fmamk_f32 v159, v107, 0xbf763a35, v163 :: v_dual_add_f32 v90, v156, v90
	v_sub_f32_e32 v156, v167, v202
	v_dual_add_f32 v82, v82, v79 :: v_dual_add_f32 v79, v155, v81
	v_fmac_f32_e32 v164, 0xbf1a4643, v110
	v_fma_f32 v155, 0xbe8c1d8e, v134, -v165
	v_mul_f32_e32 v165, 0x3dbcf732, v135
	s_delay_alu instid0(VALU_DEP_4) | instskip(NEXT) | instid1(VALU_DEP_4)
	v_add_f32_e32 v81, v158, v82
	v_dual_fmamk_f32 v82, v106, 0x3f4c4adb, v162 :: v_dual_add_f32 v153, v164, v153
	v_mul_f32_e32 v164, 0x3f6eb680, v129
	v_add_f32_e32 v90, v156, v90
	v_sub_f32_e32 v156, v173, v206
	s_delay_alu instid0(VALU_DEP_4) | instskip(SKIP_4) | instid1(VALU_DEP_4)
	v_add_f32_e32 v158, v74, v82
	v_add_f32_e32 v160, v166, v153
	;; [unrolled: 1-line block ×3, first 2 shown]
	v_mul_f32_e32 v166, 0x3f3d2fb0, v130
	v_fmamk_f32 v155, v109, 0x3eb8f4ab, v164
	v_dual_add_f32 v81, v159, v158 :: v_dual_add_f32 v158, v168, v160
	v_mul_f32_e32 v168, 0xbf4c4adb, v120
	s_delay_alu instid0(VALU_DEP_4) | instskip(NEXT) | instid1(VALU_DEP_3)
	v_fmamk_f32 v222, v115, 0x3f2c7751, v166
	v_dual_add_f32 v90, v156, v90 :: v_dual_add_f32 v81, v155, v81
	s_delay_alu instid0(VALU_DEP_3) | instskip(SKIP_2) | instid1(VALU_DEP_3)
	v_dual_add_f32 v159, v169, v158 :: v_dual_fmamk_f32 v158, v104, 0xbf1a4643, v168
	v_dual_mul_f32 v169, 0x3f763a35, v121 :: v_dual_sub_f32 v156, v177, v210
	v_add_f32_e32 v172, v175, v172
	v_dual_add_f32 v175, v211, v183 :: v_dual_add_f32 v158, v73, v158
	s_delay_alu instid0(VALU_DEP_3) | instskip(SKIP_2) | instid1(VALU_DEP_4)
	v_fmamk_f32 v160, v105, 0xbe8c1d8e, v169
	v_mul_f32_e32 v173, 0x3ee437d1, v125
	v_mul_f32_e32 v177, 0xbf65296c, v120
	v_add_f32_e32 v167, v175, v172
	s_delay_alu instid0(VALU_DEP_4) | instskip(SKIP_3) | instid1(VALU_DEP_4)
	v_dual_add_f32 v172, v215, v184 :: v_dual_add_f32 v223, v160, v158
	v_mul_f32_e32 v158, 0xbf06c442, v123
	v_mul_f32_e32 v153, 0xbf59a7d5, v132
	v_mul_f32_e32 v175, 0xbf7ba420, v129
	v_dual_add_f32 v167, v172, v167 :: v_dual_add_f32 v172, v219, v186
	v_add_f32_e32 v87, v87, v85
	s_delay_alu instid0(VALU_DEP_4)
	v_fmamk_f32 v155, v111, 0x3f06c442, v153
	v_mul_f32_e32 v186, 0xbeb8f4ab, v126
	v_fmamk_f32 v191, v116, 0x3dbcf732, v189
	v_add_f32_e32 v85, v172, v167
	v_sub_f32_e32 v167, v179, v214
	v_add_f32_e32 v81, v155, v81
	v_fmamk_f32 v155, v113, 0xbf7ee86f, v165
	v_dual_add_f32 v87, v88, v87 :: v_dual_add_f32 v88, v201, v89
	v_add_f32_e32 v89, v156, v90
	s_delay_alu instid0(VALU_DEP_3) | instskip(SKIP_1) | instid1(VALU_DEP_4)
	v_dual_add_f32 v172, v213, v174 :: v_dual_add_f32 v155, v155, v81
	v_add_f32_e32 v81, v221, v159
	v_dual_add_f32 v87, v88, v87 :: v_dual_add_f32 v88, v205, v154
	s_delay_alu instid0(VALU_DEP_4) | instskip(NEXT) | instid1(VALU_DEP_4)
	v_add_f32_e32 v89, v167, v89
	v_add_f32_e32 v221, v222, v155
	v_dual_add_f32 v155, v224, v223 :: v_dual_fmamk_f32 v222, v110, 0xbf59a7d5, v158
	v_mul_f32_e32 v159, 0x3f7ee86f, v124
	v_mul_f32_e32 v156, 0xbf1a4643, v127
	v_dual_mul_f32 v167, 0xbe8c1d8e, v132 :: v_dual_add_f32 v36, v36, v73
	s_delay_alu instid0(VALU_DEP_4) | instskip(NEXT) | instid1(VALU_DEP_4)
	v_add_f32_e32 v222, v222, v155
	v_fmamk_f32 v224, v112, 0x3dbcf732, v159
	s_delay_alu instid0(VALU_DEP_4) | instskip(SKIP_2) | instid1(VALU_DEP_4)
	v_fmamk_f32 v154, v107, 0x3f4c4adb, v156
	v_mul_f32_e32 v132, 0x3dbcf732, v132
	v_dual_fmac_f32 v162, 0xbf4c4adb, v106 :: v_dual_add_f32 v87, v88, v87
	v_add_f32_e32 v222, v224, v222
	v_add_f32_e32 v224, v157, v84
	v_dual_add_f32 v88, v209, v171 :: v_dual_sub_f32 v171, v180, v218
	v_mul_f32_e32 v180, 0x3e3c28d5, v122
	v_mul_f32_e32 v183, 0x3f2c7751, v124
	s_delay_alu instid0(VALU_DEP_4) | instskip(SKIP_2) | instid1(VALU_DEP_3)
	v_dual_add_f32 v192, v161, v224 :: v_dual_mul_f32 v161, 0x3f65296c, v131
	v_mul_f32_e32 v152, 0x3ee437d1, v134
	v_dual_mul_f32 v174, 0x3f3d2fb0, v135 :: v_dual_add_f32 v37, v37, v74
	v_add_f32_e32 v182, v182, v192
	s_delay_alu instid0(VALU_DEP_4) | instskip(SKIP_1) | instid1(VALU_DEP_4)
	v_fmamk_f32 v195, v118, 0x3ee437d1, v161
	v_mul_f32_e32 v160, 0xbf7ba420, v133
	v_dual_add_f32 v36, v38, v36 :: v_dual_add_f32 v37, v39, v37
	s_delay_alu instid0(VALU_DEP_4) | instskip(NEXT) | instid1(VALU_DEP_3)
	v_dual_add_f32 v182, v185, v182 :: v_dual_sub_f32 v185, v187, v212
	v_fmamk_f32 v223, v117, 0x3e3c28d5, v160
	s_delay_alu instid0(VALU_DEP_3) | instskip(NEXT) | instid1(VALU_DEP_4)
	v_dual_mul_f32 v39, 0xbf1a4643, v130 :: v_dual_add_f32 v36, v44, v36
	v_add_f32_e32 v37, v45, v37
	s_delay_alu instid0(VALU_DEP_4) | instskip(NEXT) | instid1(VALU_DEP_4)
	v_add_f32_e32 v178, v185, v182
	v_add_f32_e32 v196, v223, v221
	v_fmamk_f32 v221, v119, 0xbf65296c, v152
	v_dual_mul_f32 v155, 0xbf2c7751, v126 :: v_dual_sub_f32 v182, v188, v216
	v_mul_f32_e32 v185, 0x3dbcf732, v127
	s_delay_alu instid0(VALU_DEP_3) | instskip(NEXT) | instid1(VALU_DEP_3)
	v_dual_mul_f32 v127, 0x3f3d2fb0, v127 :: v_dual_add_f32 v84, v221, v196
	v_fmamk_f32 v223, v114, 0x3f3d2fb0, v155
	s_delay_alu instid0(VALU_DEP_4) | instskip(SKIP_2) | instid1(VALU_DEP_4)
	v_dual_mul_f32 v157, 0xbe3c28d5, v128 :: v_dual_add_f32 v178, v182, v178
	v_mul_f32_e32 v182, 0x3f3d2fb0, v125
	v_fmamk_f32 v187, v107, 0x3f7ee86f, v185
	v_add_f32_e32 v196, v223, v222
	s_delay_alu instid0(VALU_DEP_4) | instskip(SKIP_3) | instid1(VALU_DEP_4)
	v_fmamk_f32 v200, v116, 0xbf7ba420, v157
	v_add_f32_e32 v86, v181, v178
	v_mul_f32_e32 v181, 0xbf59a7d5, v134
	v_dual_add_f32 v87, v88, v87 :: v_dual_add_f32 v88, v171, v89
	v_add_f32_e32 v192, v200, v196
	v_dual_add_f32 v171, v217, v176 :: v_dual_fmamk_f32 v184, v106, 0x3f2c7751, v182
	v_fmamk_f32 v203, v107, 0x3f2c7751, v127
	s_delay_alu instid0(VALU_DEP_4) | instskip(NEXT) | instid1(VALU_DEP_4)
	v_add_f32_e32 v87, v172, v87
	v_add_f32_e32 v83, v195, v192
	v_mul_f32_e32 v195, 0xbf7ee86f, v121
	v_fmamk_f32 v90, v106, 0x3f65296c, v173
	s_delay_alu instid0(VALU_DEP_4) | instskip(SKIP_1) | instid1(VALU_DEP_4)
	v_dual_fmamk_f32 v172, v104, 0x3ee437d1, v177 :: v_dual_add_f32 v87, v171, v87
	v_mul_f32_e32 v188, 0xbf1a4643, v129
	v_fmamk_f32 v197, v105, 0x3dbcf732, v195
	v_mul_f32_e32 v176, 0xbf4c4adb, v121
	v_add_f32_e32 v90, v74, v90
	v_add_f32_e32 v172, v73, v172
	v_dual_add_f32 v184, v74, v184 :: v_dual_mul_f32 v129, 0x3ee437d1, v129
	s_delay_alu instid0(VALU_DEP_4)
	v_fmamk_f32 v179, v105, 0xbf1a4643, v176
	v_mul_f32_e32 v204, 0x3f65296c, v128
	v_mul_f32_e32 v196, 0x3ee437d1, v133
	;; [unrolled: 1-line block ×3, first 2 shown]
	v_add_f32_e32 v184, v187, v184
	v_add_f32_e32 v171, v179, v172
	v_mul_f32_e32 v179, 0x3f763a35, v123
	v_dual_fmamk_f32 v199, v117, 0xbf65296c, v196 :: v_dual_add_f32 v90, v154, v90
	v_fmamk_f32 v154, v109, 0xbe3c28d5, v175
	v_fmamk_f32 v187, v109, 0x3f4c4adb, v188
	v_mul_f32_e32 v125, 0x3f6eb680, v125
	v_fmamk_f32 v172, v108, 0xbf7ba420, v180
	s_delay_alu instid0(VALU_DEP_4) | instskip(SKIP_1) | instid1(VALU_DEP_4)
	v_dual_mul_f32 v45, 0xbeb8f4ab, v120 :: v_dual_add_f32 v90, v154, v90
	v_fmamk_f32 v154, v111, 0xbf763a35, v167
	v_fmamk_f32 v201, v106, 0x3eb8f4ab, v125
	v_fmac_f32_e32 v185, 0xbf7ee86f, v107
	v_dual_fmac_f32 v152, 0x3f65296c, v119 :: v_dual_add_f32 v37, v47, v37
	s_delay_alu instid0(VALU_DEP_4) | instskip(NEXT) | instid1(VALU_DEP_4)
	v_dual_add_f32 v89, v154, v90 :: v_dual_fmamk_f32 v90, v113, 0xbf2c7751, v174
	v_dual_mul_f32 v154, 0x3f6eb680, v130 :: v_dual_add_f32 v201, v74, v201
	s_delay_alu instid0(VALU_DEP_3) | instskip(NEXT) | instid1(VALU_DEP_2)
	v_dual_fmamk_f32 v38, v115, 0x3f4c4adb, v39 :: v_dual_add_f32 v37, v49, v37
	v_dual_add_f32 v89, v90, v89 :: v_dual_fmamk_f32 v90, v115, 0x3eb8f4ab, v154
	s_delay_alu instid0(VALU_DEP_3) | instskip(SKIP_1) | instid1(VALU_DEP_4)
	v_add_f32_e32 v201, v203, v201
	v_fmamk_f32 v203, v109, 0x3f65296c, v129
	v_dual_fmamk_f32 v44, v104, 0x3f6eb680, v45 :: v_dual_add_f32 v37, v51, v37
	s_delay_alu instid0(VALU_DEP_4) | instskip(SKIP_3) | instid1(VALU_DEP_4)
	v_dual_add_f32 v89, v90, v89 :: v_dual_fmamk_f32 v90, v117, 0x3f7ee86f, v178
	v_dual_mul_f32 v47, 0xbf2c7751, v121 :: v_dual_add_f32 v36, v46, v36
	v_fmac_f32_e32 v156, 0xbf4c4adb, v107
	v_fmac_f32_e32 v178, 0xbf7ee86f, v117
	v_dual_add_f32 v89, v90, v89 :: v_dual_add_f32 v90, v172, v171
	v_fmamk_f32 v171, v110, 0xbe8c1d8e, v179
	v_fmamk_f32 v172, v119, 0x3f06c442, v181
	;; [unrolled: 1-line block ×3, first 2 shown]
	v_fmac_f32_e32 v181, 0xbf06c442, v119
	s_delay_alu instid0(VALU_DEP_4) | instskip(SKIP_4) | instid1(VALU_DEP_4)
	v_dual_fmac_f32 v39, 0xbf4c4adb, v115 :: v_dual_add_f32 v90, v171, v90
	v_fmamk_f32 v171, v112, 0x3f3d2fb0, v183
	v_fmac_f32_e32 v174, 0x3f2c7751, v113
	v_add_f32_e32 v37, v53, v37
	v_fmac_f32_e32 v143, 0xbe3c28d5, v106
	v_dual_fmac_f32 v137, 0x3eb8f4ab, v107 :: v_dual_add_f32 v90, v171, v90
	v_fmamk_f32 v171, v114, 0x3f6eb680, v186
	s_delay_alu instid0(VALU_DEP_4) | instskip(SKIP_2) | instid1(VALU_DEP_4)
	v_dual_add_f32 v37, v55, v37 :: v_dual_fmac_f32 v136, 0x3f2c7751, v111
	v_fmac_f32_e32 v139, 0xbf4c4adb, v113
	v_fmac_f32_e32 v163, 0x3f763a35, v107
	v_dual_add_f32 v171, v171, v90 :: v_dual_add_f32 v90, v172, v89
	v_add_f32_e32 v89, v187, v184
	v_fmamk_f32 v172, v111, 0x3e3c28d5, v190
	v_mul_f32_e32 v184, 0xbf59a7d5, v135
	s_delay_alu instid0(VALU_DEP_4) | instskip(SKIP_2) | instid1(VALU_DEP_4)
	v_add_f32_e32 v171, v191, v171
	v_mul_f32_e32 v191, 0xbf2c7751, v120
	v_mul_f32_e32 v135, 0xbe8c1d8e, v135
	v_dual_add_f32 v89, v172, v89 :: v_dual_fmamk_f32 v172, v113, 0xbf06c442, v184
	v_mul_f32_e32 v202, 0x3f763a35, v126
	v_mul_f32_e32 v192, 0xbe8c1d8e, v130
	v_mul_f32_e32 v187, 0xbf06c442, v131
	v_fmamk_f32 v194, v104, 0x3f3d2fb0, v191
	v_add_f32_e32 v89, v172, v89
	s_delay_alu instid0(VALU_DEP_4) | instskip(NEXT) | instid1(VALU_DEP_3)
	v_dual_add_f32 v37, v41, v37 :: v_dual_fmamk_f32 v172, v115, 0xbf763a35, v192
	v_dual_fmamk_f32 v193, v118, 0xbf59a7d5, v187 :: v_dual_add_f32 v194, v73, v194
	v_mul_f32_e32 v41, 0xbf7ba420, v134
	s_delay_alu instid0(VALU_DEP_3) | instskip(NEXT) | instid1(VALU_DEP_3)
	v_add_f32_e32 v37, v43, v37
	v_dual_add_f32 v172, v172, v89 :: v_dual_add_f32 v89, v193, v171
	s_delay_alu instid0(VALU_DEP_4) | instskip(SKIP_2) | instid1(VALU_DEP_4)
	v_add_f32_e32 v171, v197, v194
	v_fmamk_f32 v193, v108, 0xbf1a4643, v198
	v_mul_f32_e32 v194, 0xbe3c28d5, v123
	v_dual_add_f32 v172, v199, v172 :: v_dual_mul_f32 v197, 0x3f6eb680, v134
	v_mul_f32_e32 v199, 0x3f06c442, v124
	s_delay_alu instid0(VALU_DEP_4) | instskip(NEXT) | instid1(VALU_DEP_4)
	v_add_f32_e32 v171, v193, v171
	v_fmamk_f32 v193, v110, 0xbf7ba420, v194
	v_fmamk_f32 v43, v119, 0x3e3c28d5, v41
	;; [unrolled: 1-line block ×3, first 2 shown]
	v_mul_f32_e32 v46, 0xbf59a7d5, v133
	s_delay_alu instid0(VALU_DEP_4) | instskip(SKIP_1) | instid1(VALU_DEP_3)
	v_dual_add_f32 v36, v48, v36 :: v_dual_add_f32 v171, v193, v171
	v_fmamk_f32 v193, v112, 0xbf59a7d5, v199
	v_dual_add_f32 v172, v200, v172 :: v_dual_fmamk_f32 v51, v117, 0x3f06c442, v46
	v_add_f32_e32 v200, v203, v201
	v_fmamk_f32 v201, v111, 0x3f7ee86f, v132
	s_delay_alu instid0(VALU_DEP_4) | instskip(SKIP_1) | instid1(VALU_DEP_3)
	v_dual_add_f32 v171, v193, v171 :: v_dual_add_f32 v36, v50, v36
	v_fmac_f32_e32 v188, 0xbf4c4adb, v109
	v_dual_fmac_f32 v141, 0xbf763a35, v117 :: v_dual_add_f32 v200, v201, v200
	v_fmamk_f32 v201, v113, 0x3f763a35, v135
	s_delay_alu instid0(VALU_DEP_4) | instskip(SKIP_2) | instid1(VALU_DEP_4)
	v_dual_fmamk_f32 v193, v114, 0xbe8c1d8e, v202 :: v_dual_add_f32 v36, v52, v36
	v_fmac_f32_e32 v153, 0xbf06c442, v111
	v_fmac_f32_e32 v192, 0x3f763a35, v115
	v_add_f32_e32 v200, v201, v200
	s_delay_alu instid0(VALU_DEP_4) | instskip(SKIP_2) | instid1(VALU_DEP_4)
	v_add_f32_e32 v171, v193, v171
	v_dual_fmamk_f32 v193, v116, 0x3ee437d1, v204 :: v_dual_add_f32 v36, v54, v36
	v_fmac_f32_e32 v182, 0xbf2c7751, v106
	v_add_f32_e32 v38, v38, v200
	s_delay_alu instid0(VALU_DEP_3) | instskip(NEXT) | instid1(VALU_DEP_4)
	v_dual_fmac_f32 v196, 0x3f65296c, v117 :: v_dual_add_f32 v171, v193, v171
	v_dual_mul_f32 v193, 0x3eb8f4ab, v131 :: v_dual_add_f32 v36, v40, v36
	v_dual_mul_f32 v48, 0xbf65296c, v122 :: v_dual_add_f32 v37, v33, v37
	v_add_f32_e32 v44, v73, v44
	s_delay_alu instid0(VALU_DEP_3) | instskip(SKIP_2) | instid1(VALU_DEP_4)
	v_fmamk_f32 v130, v118, 0x3f6eb680, v193
	v_mul_f32_e32 v50, 0xbf7ee86f, v123
	v_dual_add_f32 v38, v51, v38 :: v_dual_mul_f32 v51, 0xbf763a35, v124
	v_dual_add_f32 v35, v35, v37 :: v_dual_add_f32 v44, v49, v44
	v_fmamk_f32 v49, v108, 0x3ee437d1, v48
	v_mul_f32_e32 v40, 0xbf4c4adb, v126
	v_fmac_f32_e32 v190, 0xbe3c28d5, v111
	s_delay_alu instid0(VALU_DEP_4) | instskip(NEXT) | instid1(VALU_DEP_4)
	v_add_f32_e32 v29, v29, v35
	v_dual_add_f32 v171, v130, v171 :: v_dual_add_f32 v44, v49, v44
	v_fmamk_f32 v49, v110, 0x3dbcf732, v50
	s_delay_alu instid0(VALU_DEP_3) | instskip(SKIP_1) | instid1(VALU_DEP_3)
	v_dual_fmac_f32 v132, 0xbf7ee86f, v111 :: v_dual_add_f32 v29, v58, v29
	v_fmac_f32_e32 v173, 0xbf65296c, v106
	v_dual_fmac_f32 v175, 0x3e3c28d5, v109 :: v_dual_add_f32 v44, v49, v44
	v_fmamk_f32 v49, v112, 0xbe8c1d8e, v51
	s_delay_alu instid0(VALU_DEP_4) | instskip(SKIP_2) | instid1(VALU_DEP_4)
	v_add_f32_e32 v1, v1, v29
	v_fmac_f32_e32 v165, 0x3f7ee86f, v113
	v_fmac_f32_e32 v129, 0xbf65296c, v109
	v_dual_fmac_f32 v125, 0xbeb8f4ab, v106 :: v_dual_add_f32 v44, v49, v44
	v_mul_f32_e32 v49, 0xbf06c442, v128
	v_add_f32_e32 v36, v42, v36
	v_dual_fmamk_f32 v42, v114, 0xbf1a4643, v40 :: v_dual_add_f32 v33, v43, v38
	v_mul_f32_e32 v38, 0xbe3c28d5, v131
	s_delay_alu instid0(VALU_DEP_4) | instskip(NEXT) | instid1(VALU_DEP_4)
	v_fmamk_f32 v37, v116, 0xbf59a7d5, v49
	v_add_f32_e32 v32, v32, v36
	s_delay_alu instid0(VALU_DEP_4) | instskip(NEXT) | instid1(VALU_DEP_4)
	v_dual_add_f32 v36, v42, v44 :: v_dual_add_f32 v1, v3, v1
	v_fmamk_f32 v35, v118, 0xbf7ba420, v38
	v_fmac_f32_e32 v46, 0xbf06c442, v117
	s_delay_alu instid0(VALU_DEP_4) | instskip(NEXT) | instid1(VALU_DEP_4)
	v_add_f32_e32 v32, v34, v32
	v_add_f32_e32 v34, v37, v36
	;; [unrolled: 1-line block ×3, first 2 shown]
	v_fma_f32 v37, 0xbf1a4643, v105, -v176
	v_fmac_f32_e32 v184, 0x3f06c442, v113
	v_add_f32_e32 v28, v28, v32
	s_delay_alu instid0(VALU_DEP_4) | instskip(SKIP_2) | instid1(VALU_DEP_4)
	v_dual_fmac_f32 v154, 0xbeb8f4ab, v115 :: v_dual_add_f32 v29, v137, v36
	v_fma_f32 v36, 0xbe8c1d8e, v105, -v169
	v_fma_f32 v42, 0xbf7ba420, v116, -v157
	v_add_f32_e32 v28, v57, v28
	v_fma_f32 v43, 0xbf59a7d5, v118, -v187
	v_dual_add_f32 v3, v138, v29 :: v_dual_add_f32 v32, v35, v34
	v_fma_f32 v34, 0xbf7ba420, v104, -v146
	v_fma_f32 v35, 0x3f6eb680, v105, -v148
	v_add_f32_e32 v0, v0, v28
	v_fma_f32 v29, 0xbf59a7d5, v108, -v149
	v_fma_f32 v40, 0xbf1a4643, v114, -v40
	v_add_f32_e32 v34, v73, v34
	v_fma_f32 v38, 0xbf7ba420, v118, -v38
	v_add_f32_e32 v0, v2, v0
	v_add_f32_e32 v2, v136, v3
	;; [unrolled: 1-line block ×4, first 2 shown]
	v_fma_f32 v34, 0xbf1a4643, v104, -v168
	v_fma_f32 v35, 0xbe8c1d8e, v116, -v144
	v_fmac_f32_e32 v127, 0xbf2c7751, v107
	v_fmac_f32_e32 v135, 0xbf763a35, v113
	v_add_f32_e32 v3, v29, v28
	v_fma_f32 v28, 0x3f3d2fb0, v110, -v145
	v_add_f32_e32 v34, v73, v34
	v_fmac_f32_e32 v142, 0x3f7ee86f, v119
	v_fmac_f32_e32 v164, 0xbeb8f4ab, v109
	s_delay_alu instid0(VALU_DEP_4) | instskip(SKIP_2) | instid1(VALU_DEP_3)
	v_dual_add_f32 v44, v127, v44 :: v_dual_add_f32 v3, v28, v3
	v_fma_f32 v28, 0xbf1a4643, v112, -v151
	v_fmac_f32_e32 v197, 0x3eb8f4ab, v119
	v_dual_fmac_f32 v41, 0xbe3c28d5, v119 :: v_dual_add_f32 v44, v129, v44
	s_delay_alu instid0(VALU_DEP_3) | instskip(SKIP_2) | instid1(VALU_DEP_2)
	v_add_f32_e32 v3, v28, v3
	v_add_f32_e32 v29, v74, v162
	v_fma_f32 v28, 0x3ee437d1, v114, -v150
	v_dual_add_f32 v44, v132, v44 :: v_dual_add_f32 v29, v163, v29
	s_delay_alu instid0(VALU_DEP_2) | instskip(SKIP_1) | instid1(VALU_DEP_3)
	v_add_f32_e32 v28, v28, v3
	v_fmac_f32_e32 v140, 0x3f65296c, v115
	v_dual_add_f32 v44, v135, v44 :: v_dual_add_f32 v29, v164, v29
	s_delay_alu instid0(VALU_DEP_3) | instskip(SKIP_1) | instid1(VALU_DEP_3)
	v_add_f32_e32 v28, v35, v28
	v_fma_f32 v35, 0x3dbcf732, v118, -v147
	v_add_f32_e32 v39, v39, v44
	v_fma_f32 v44, 0x3f6eb680, v118, -v193
	v_dual_add_f32 v29, v153, v29 :: v_dual_add_f32 v2, v139, v2
	s_delay_alu instid0(VALU_DEP_1) | instskip(NEXT) | instid1(VALU_DEP_1)
	v_dual_add_f32 v39, v46, v39 :: v_dual_add_f32 v2, v140, v2
	v_add_f32_e32 v39, v41, v39
	s_delay_alu instid0(VALU_DEP_2) | instskip(NEXT) | instid1(VALU_DEP_1)
	v_add_f32_e32 v2, v141, v2
	v_dual_add_f32 v3, v142, v2 :: v_dual_add_f32 v2, v165, v29
	v_add_f32_e32 v29, v36, v34
	v_fma_f32 v34, 0x3f6eb680, v108, -v170
	s_delay_alu instid0(VALU_DEP_1) | instskip(SKIP_1) | instid1(VALU_DEP_1)
	v_add_f32_e32 v29, v34, v29
	v_fma_f32 v34, 0xbf59a7d5, v110, -v158
	v_dual_fmac_f32 v166, 0xbf2c7751, v115 :: v_dual_add_f32 v29, v34, v29
	s_delay_alu instid0(VALU_DEP_1) | instskip(SKIP_2) | instid1(VALU_DEP_2)
	v_add_f32_e32 v36, v166, v2
	v_fma_f32 v34, 0x3dbcf732, v112, -v159
	v_dual_add_f32 v2, v35, v28 :: v_dual_add_f32 v35, v74, v173
	v_add_f32_e32 v29, v34, v29
	v_fma_f32 v34, 0x3f3d2fb0, v114, -v155
	s_delay_alu instid0(VALU_DEP_3) | instskip(NEXT) | instid1(VALU_DEP_2)
	v_add_f32_e32 v35, v156, v35
	v_dual_fmac_f32 v167, 0x3f763a35, v111 :: v_dual_add_f32 v34, v34, v29
	s_delay_alu instid0(VALU_DEP_2) | instskip(NEXT) | instid1(VALU_DEP_1)
	v_dual_add_f32 v35, v175, v35 :: v_dual_fmac_f32 v160, 0xbe3c28d5, v117
	v_dual_add_f32 v35, v167, v35 :: v_dual_add_f32 v28, v160, v36
	v_fma_f32 v36, 0x3ee437d1, v104, -v177
	s_delay_alu instid0(VALU_DEP_2) | instskip(NEXT) | instid1(VALU_DEP_3)
	v_add_f32_e32 v35, v174, v35
	v_add_f32_e32 v29, v152, v28
	s_delay_alu instid0(VALU_DEP_3) | instskip(SKIP_2) | instid1(VALU_DEP_3)
	v_add_f32_e32 v36, v73, v36
	v_add_f32_e32 v28, v42, v34
	;; [unrolled: 1-line block ×3, first 2 shown]
	v_dual_add_f32 v35, v154, v35 :: v_dual_add_f32 v36, v37, v36
	v_fma_f32 v37, 0xbf7ba420, v108, -v180
	s_delay_alu instid0(VALU_DEP_1) | instskip(SKIP_2) | instid1(VALU_DEP_2)
	v_dual_add_f32 v35, v178, v35 :: v_dual_add_f32 v34, v37, v36
	v_fma_f32 v37, 0x3ee437d1, v118, -v161
	v_fma_f32 v36, 0xbe8c1d8e, v110, -v179
	v_add_f32_e32 v28, v37, v28
	v_add_f32_e32 v37, v185, v42
	v_fma_f32 v42, 0x3f3d2fb0, v104, -v191
	s_delay_alu instid0(VALU_DEP_2) | instskip(NEXT) | instid1(VALU_DEP_1)
	v_add_f32_e32 v37, v188, v37
	v_dual_add_f32 v37, v190, v37 :: v_dual_add_f32 v34, v36, v34
	v_fma_f32 v36, 0x3f3d2fb0, v112, -v183
	s_delay_alu instid0(VALU_DEP_2) | instskip(NEXT) | instid1(VALU_DEP_2)
	v_add_f32_e32 v37, v184, v37
	v_add_f32_e32 v34, v36, v34
	v_fma_f32 v36, 0x3f6eb680, v114, -v186
	s_delay_alu instid0(VALU_DEP_3) | instskip(NEXT) | instid1(VALU_DEP_2)
	v_add_f32_e32 v37, v192, v37
	v_add_f32_e32 v34, v36, v34
	v_fma_f32 v36, 0x3dbcf732, v116, -v189
	s_delay_alu instid0(VALU_DEP_3) | instskip(NEXT) | instid1(VALU_DEP_2)
	v_add_f32_e32 v37, v196, v37
	v_add_f32_e32 v34, v36, v34
	;; [unrolled: 1-line block ×3, first 2 shown]
	v_fma_f32 v42, 0x3dbcf732, v105, -v195
	v_add_f32_e32 v35, v181, v35
	s_delay_alu instid0(VALU_DEP_4) | instskip(SKIP_1) | instid1(VALU_DEP_4)
	v_dual_add_f32 v37, v197, v37 :: v_dual_add_f32 v34, v43, v34
	v_fma_f32 v43, 0x3f6eb680, v104, -v45
	v_add_f32_e32 v36, v42, v36
	v_fma_f32 v42, 0xbf1a4643, v108, -v198
	v_fma_f32 v45, 0xbf59a7d5, v112, -v199
	s_delay_alu instid0(VALU_DEP_2) | instskip(SKIP_1) | instid1(VALU_DEP_1)
	v_add_f32_e32 v36, v42, v36
	v_fma_f32 v42, 0xbf7ba420, v110, -v194
	v_add_f32_e32 v36, v42, v36
	v_add_f32_e32 v42, v73, v43
	v_fma_f32 v43, 0x3f3d2fb0, v105, -v47
	s_delay_alu instid0(VALU_DEP_3) | instskip(SKIP_1) | instid1(VALU_DEP_3)
	v_add_f32_e32 v36, v45, v36
	v_fma_f32 v45, 0xbe8c1d8e, v114, -v202
	v_add_f32_e32 v42, v43, v42
	v_fma_f32 v43, 0x3ee437d1, v108, -v48
	s_delay_alu instid0(VALU_DEP_3) | instskip(SKIP_1) | instid1(VALU_DEP_3)
	v_add_f32_e32 v36, v45, v36
	v_fma_f32 v45, 0x3ee437d1, v116, -v204
	v_add_f32_e32 v42, v43, v42
	v_fma_f32 v43, 0x3dbcf732, v110, -v50
	s_delay_alu instid0(VALU_DEP_3) | instskip(NEXT) | instid1(VALU_DEP_2)
	v_add_f32_e32 v36, v45, v36
	v_add_f32_e32 v42, v43, v42
	v_fma_f32 v43, 0xbe8c1d8e, v112, -v51
	s_delay_alu instid0(VALU_DEP_3) | instskip(NEXT) | instid1(VALU_DEP_2)
	v_add_f32_e32 v36, v44, v36
	v_add_f32_e32 v42, v43, v42
	v_mul_lo_u16 v43, v93, 17
	s_delay_alu instid0(VALU_DEP_2) | instskip(SKIP_1) | instid1(VALU_DEP_1)
	v_add_f32_e32 v40, v40, v42
	v_fma_f32 v42, 0xbf59a7d5, v116, -v49
	v_dual_add_f32 v40, v42, v40 :: v_dual_and_b32 v43, 0xffff, v43
	s_delay_alu instid0(VALU_DEP_1) | instskip(NEXT) | instid1(VALU_DEP_2)
	v_lshl_add_u32 v42, v43, 3, v94
	v_add_f32_e32 v38, v38, v40
	ds_store_2addr_b64 v42, v[0:1], v[32:33] offset1:1
	ds_store_2addr_b64 v42, v[171:172], v[89:90] offset0:2 offset1:3
	ds_store_2addr_b64 v42, v[87:88], v[85:86] offset0:4 offset1:5
	;; [unrolled: 1-line block ×7, first 2 shown]
	ds_store_b64 v42, v[38:39] offset:128
.LBB0_17:
	s_wait_alu 0xfffe
	s_or_b32 exec_lo, exec_lo, s1
	v_add_nc_u32_e32 v36, 0x800, v95
	global_wb scope:SCOPE_SE
	s_wait_dscnt 0x0
	s_barrier_signal -1
	s_barrier_wait -1
	global_inv scope:SCOPE_SE
	ds_load_2addr_b64 v[32:35], v95 offset1:34
	ds_load_2addr_b64 v[44:47], v95 offset0:221 offset1:255
	ds_load_2addr_b64 v[0:3], v95 offset0:68 offset1:102
	;; [unrolled: 1-line block ×5, first 2 shown]
	s_and_saveexec_b32 s1, s0
	s_cbranch_execz .LBB0_19
; %bb.18:
	ds_load_b64 v[75:76], v95 offset:1632
	ds_load_b64 v[77:78], v95 offset:3400
.LBB0_19:
	s_wait_alu 0xfffe
	s_or_b32 exec_lo, exec_lo, s1
	s_wait_dscnt 0x4
	v_dual_mul_f32 v48, v66, v45 :: v_dual_mul_f32 v51, v72, v46
	v_dual_mul_f32 v49, v66, v44 :: v_dual_mul_f32 v50, v72, v47
	global_wb scope:SCOPE_SE
	s_wait_dscnt 0x0
	v_fmac_f32_e32 v48, v65, v44
	v_mul_f32_e32 v52, v64, v37
	v_fma_f32 v44, v65, v45, -v49
	v_dual_mul_f32 v45, v68, v41 :: v_dual_fmac_f32 v50, v71, v46
	v_fma_f32 v46, v71, v47, -v51
	v_mul_f32_e32 v47, v68, v40
	v_mul_f32_e32 v49, v70, v43
	;; [unrolled: 1-line block ×3, first 2 shown]
	v_fmac_f32_e32 v45, v67, v40
	v_mul_f32_e32 v40, v64, v36
	v_fma_f32 v41, v67, v41, -v47
	v_dual_fmac_f32 v49, v69, v42 :: v_dual_fmac_f32 v52, v63, v36
	v_dual_mul_f32 v47, v62, v39 :: v_dual_sub_f32 v36, v32, v48
	v_mul_f32_e32 v42, v62, v38
	v_fma_f32 v43, v69, v43, -v51
	v_fma_f32 v48, v63, v37, -v40
	v_sub_f32_e32 v37, v33, v44
	v_dual_fmac_f32 v47, v61, v38 :: v_dual_sub_f32 v40, v0, v45
	v_fma_f32 v51, v61, v39, -v42
	v_sub_f32_e32 v38, v34, v50
	v_dual_sub_f32 v39, v35, v46 :: v_dual_sub_f32 v42, v2, v49
	v_dual_sub_f32 v41, v1, v41 :: v_dual_sub_f32 v44, v28, v52
	v_sub_f32_e32 v43, v3, v43
	v_dual_sub_f32 v45, v29, v48 :: v_dual_sub_f32 v46, v30, v47
	v_fma_f32 v32, v32, 2.0, -v36
	v_fma_f32 v33, v33, 2.0, -v37
	v_sub_f32_e32 v47, v31, v51
	v_fma_f32 v34, v34, 2.0, -v38
	v_fma_f32 v35, v35, 2.0, -v39
	;; [unrolled: 1-line block ×10, first 2 shown]
	s_barrier_signal -1
	s_barrier_wait -1
	global_inv scope:SCOPE_SE
	ds_store_2addr_b64 v98, v[32:33], v[36:37] offset1:17
	ds_store_2addr_b64 v103, v[34:35], v[38:39] offset1:17
	;; [unrolled: 1-line block ×6, first 2 shown]
	s_and_saveexec_b32 s1, s0
	s_cbranch_execz .LBB0_21
; %bb.20:
	v_mul_f32_e32 v0, v60, v77
	v_mul_f32_e32 v2, v60, v78
	v_lshl_add_u32 v28, v96, 3, v94
	s_delay_alu instid0(VALU_DEP_3) | instskip(NEXT) | instid1(VALU_DEP_3)
	v_fma_f32 v0, v59, v78, -v0
	v_fmac_f32_e32 v2, v59, v77
	s_delay_alu instid0(VALU_DEP_3) | instskip(NEXT) | instid1(VALU_DEP_2)
	v_add_nc_u32_e32 v28, 0x800, v28
	v_dual_sub_f32 v1, v76, v0 :: v_dual_sub_f32 v0, v75, v2
	s_delay_alu instid0(VALU_DEP_1) | instskip(NEXT) | instid1(VALU_DEP_2)
	v_fma_f32 v3, v76, 2.0, -v1
	v_fma_f32 v2, v75, 2.0, -v0
	ds_store_2addr_b64 v28, v[2:3], v[0:1] offset0:152 offset1:169
.LBB0_21:
	s_wait_alu 0xfffe
	s_or_b32 exec_lo, exec_lo, s1
	global_wb scope:SCOPE_SE
	s_wait_dscnt 0x0
	s_barrier_signal -1
	s_barrier_wait -1
	global_inv scope:SCOPE_SE
	ds_load_2addr_b64 v[28:31], v95 offset1:34
	ds_load_2addr_b64 v[0:3], v95 offset0:68 offset1:102
	ds_load_2addr_b64 v[32:35], v95 offset0:136 offset1:170
	v_add_nc_u32_e32 v44, 0x800, v95
	s_wait_dscnt 0x1
	v_dual_mul_f32 v50, v25, v31 :: v_dual_mul_f32 v51, v27, v1
	v_mul_f32_e32 v25, v25, v30
	ds_load_2addr_b64 v[36:39], v95 offset0:204 offset1:238
	ds_load_b64 v[48:49], v95 offset:3264
	ds_load_2addr_b64 v[40:43], v44 offset0:16 offset1:50
	ds_load_2addr_b64 v[44:47], v44 offset0:84 offset1:118
	v_dual_mul_f32 v27, v27, v0 :: v_dual_mul_f32 v52, v21, v3
	s_wait_dscnt 0x4
	v_dual_mul_f32 v53, v21, v2 :: v_dual_mul_f32 v54, v23, v33
	v_dual_mul_f32 v23, v23, v32 :: v_dual_fmac_f32 v50, v24, v30
	v_dual_fmac_f32 v51, v26, v0 :: v_dual_mul_f32 v0, v13, v34
	v_dual_mul_f32 v21, v13, v35 :: v_dual_fmac_f32 v52, v20, v2
	v_fma_f32 v24, v24, v31, -v25
	v_fma_f32 v25, v26, v1, -v27
	s_delay_alu instid0(VALU_DEP_4)
	v_fma_f32 v13, v12, v35, -v0
	v_add_f32_e32 v1, v28, v50
	v_fma_f32 v20, v20, v3, -v53
	v_dual_fmac_f32 v54, v22, v32 :: v_dual_fmac_f32 v21, v12, v34
	s_wait_dscnt 0x3
	v_mul_f32_e32 v2, v15, v37
	v_dual_mul_f32 v0, v15, v36 :: v_dual_mul_f32 v3, v5, v39
	v_add_f32_e32 v15, v29, v24
	v_fma_f32 v22, v22, v33, -v23
	s_delay_alu instid0(VALU_DEP_4) | instskip(NEXT) | instid1(VALU_DEP_4)
	v_fmac_f32_e32 v2, v14, v36
	v_fma_f32 v12, v14, v37, -v0
	v_dual_add_f32 v0, v1, v51 :: v_dual_fmac_f32 v3, v4, v38
	s_wait_dscnt 0x1
	v_dual_mul_f32 v5, v5, v38 :: v_dual_mul_f32 v14, v7, v41
	s_delay_alu instid0(VALU_DEP_2) | instskip(NEXT) | instid1(VALU_DEP_2)
	v_dual_add_f32 v1, v15, v25 :: v_dual_add_f32 v0, v0, v52
	v_fma_f32 v4, v4, v39, -v5
	v_mul_f32_e32 v5, v7, v40
	s_delay_alu instid0(VALU_DEP_3) | instskip(SKIP_1) | instid1(VALU_DEP_3)
	v_dual_add_f32 v1, v1, v20 :: v_dual_add_f32 v0, v0, v54
	v_dual_fmac_f32 v14, v6, v40 :: v_dual_mul_f32 v7, v17, v43
	v_fma_f32 v5, v6, v41, -v5
	s_delay_alu instid0(VALU_DEP_3) | instskip(SKIP_1) | instid1(VALU_DEP_4)
	v_dual_add_f32 v1, v1, v22 :: v_dual_add_f32 v0, v0, v21
	v_mul_f32_e32 v6, v17, v42
	v_fmac_f32_e32 v7, v16, v42
	s_wait_dscnt 0x0
	v_mul_f32_e32 v17, v9, v47
	v_dual_add_f32 v1, v1, v13 :: v_dual_add_f32 v0, v0, v2
	v_mul_f32_e32 v15, v19, v45
	v_fma_f32 v6, v16, v43, -v6
	v_mul_f32_e32 v16, v19, v44
	s_delay_alu instid0(VALU_DEP_4) | instskip(NEXT) | instid1(VALU_DEP_2)
	v_dual_add_f32 v0, v0, v3 :: v_dual_add_f32 v1, v1, v12
	v_fma_f32 v16, v18, v45, -v16
	s_delay_alu instid0(VALU_DEP_2) | instskip(SKIP_1) | instid1(VALU_DEP_2)
	v_dual_add_f32 v0, v0, v14 :: v_dual_fmac_f32 v15, v18, v44
	v_mul_f32_e32 v18, v11, v48
	v_dual_mul_f32 v11, v11, v49 :: v_dual_add_f32 v0, v0, v7
	s_delay_alu instid0(VALU_DEP_2) | instskip(SKIP_1) | instid1(VALU_DEP_3)
	v_fma_f32 v18, v10, v49, -v18
	v_add_f32_e32 v1, v1, v4
	v_fmac_f32_e32 v11, v10, v48
	v_fmac_f32_e32 v17, v8, v46
	v_add_f32_e32 v0, v0, v15
	v_add_f32_e32 v23, v24, v18
	v_dual_sub_f32 v10, v24, v18 :: v_dual_add_f32 v1, v1, v5
	v_dual_sub_f32 v24, v50, v11 :: v_dual_mul_f32 v9, v9, v46
	s_delay_alu instid0(VALU_DEP_4) | instskip(NEXT) | instid1(VALU_DEP_3)
	v_add_f32_e32 v0, v0, v17
	v_dual_mul_f32 v30, 0x3f116cb1, v23 :: v_dual_add_f32 v1, v1, v6
	s_delay_alu instid0(VALU_DEP_4) | instskip(NEXT) | instid1(VALU_DEP_4)
	v_mul_f32_e32 v36, 0xbf6f5d39, v10
	v_fma_f32 v8, v8, v47, -v9
	s_delay_alu instid0(VALU_DEP_4) | instskip(NEXT) | instid1(VALU_DEP_4)
	v_add_f32_e32 v0, v0, v11
	v_fmamk_f32 v32, v24, 0x3f52af12, v30
	v_fmac_f32_e32 v30, 0xbf52af12, v24
	v_mul_f32_e32 v27, 0x3f62ad3f, v23
	v_dual_mul_f32 v39, 0xbeb58ec6, v23 :: v_dual_sub_f32 v46, v25, v8
	s_delay_alu instid0(VALU_DEP_3) | instskip(NEXT) | instid1(VALU_DEP_2)
	v_dual_mul_f32 v35, 0x3df6dbef, v23 :: v_dual_add_f32 v30, v29, v30
	v_dual_add_f32 v1, v1, v16 :: v_dual_fmamk_f32 v40, v24, 0x3f6f5d39, v39
	v_fmac_f32_e32 v39, 0xbf6f5d39, v24
	v_dual_mul_f32 v33, 0xbf7e222b, v10 :: v_dual_add_f32 v48, v51, v17
	s_delay_alu instid0(VALU_DEP_3) | instskip(NEXT) | instid1(VALU_DEP_4)
	v_add_f32_e32 v1, v1, v8
	v_add_f32_e32 v40, v29, v40
	;; [unrolled: 1-line block ×3, first 2 shown]
	s_delay_alu instid0(VALU_DEP_3)
	v_dual_add_f32 v1, v1, v18 :: v_dual_fmamk_f32 v18, v24, 0x3eedf032, v27
	v_add_f32_e32 v9, v50, v11
	ds_store_b64 v97, v[0:1]
	v_add_f32_e32 v18, v29, v18
	v_mul_f32_e32 v42, 0xbf3f9e67, v23
	v_fmamk_f32 v38, v9, 0xbeb58ec6, v36
	v_mul_f32_e32 v41, 0xbf29c268, v10
	v_fma_f32 v36, 0xbeb58ec6, v9, -v36
	v_fmamk_f32 v34, v9, 0x3df6dbef, v33
	v_fmamk_f32 v44, v24, 0x3f29c268, v42
	;; [unrolled: 1-line block ×3, first 2 shown]
	v_fma_f32 v33, 0x3df6dbef, v9, -v33
	v_add_f32_e32 v36, v28, v36
	v_fmac_f32_e32 v42, 0xbf29c268, v24
	v_add_f32_e32 v44, v29, v44
	v_add_f32_e32 v37, v29, v37
	v_dual_mul_f32 v19, 0xbeedf032, v10 :: v_dual_add_f32 v32, v29, v32
	s_delay_alu instid0(VALU_DEP_4) | instskip(SKIP_1) | instid1(VALU_DEP_3)
	v_dual_fmac_f32 v35, 0xbf7e222b, v24 :: v_dual_add_f32 v42, v29, v42
	v_fmamk_f32 v43, v9, 0xbf3f9e67, v41
	v_fmamk_f32 v26, v9, 0x3f62ad3f, v19
	v_fma_f32 v19, 0x3f62ad3f, v9, -v19
	v_dual_fmac_f32 v27, 0xbeedf032, v24 :: v_dual_add_f32 v34, v28, v34
	v_add_f32_e32 v33, v28, v33
	s_delay_alu instid0(VALU_DEP_4) | instskip(NEXT) | instid1(VALU_DEP_4)
	v_add_f32_e32 v11, v28, v26
	v_dual_mul_f32 v26, 0xbf52af12, v10 :: v_dual_add_f32 v19, v28, v19
	v_dual_add_f32 v35, v29, v35 :: v_dual_mul_f32 v10, 0xbe750f2a, v10
	v_add_f32_e32 v43, v28, v43
	s_delay_alu instid0(VALU_DEP_3)
	v_fmamk_f32 v31, v9, 0x3f116cb1, v26
	v_fma_f32 v26, 0x3f116cb1, v9, -v26
	v_fma_f32 v41, 0xbf3f9e67, v9, -v41
	v_mul_f32_e32 v23, 0xbf788fa5, v23
	v_mul_f32_e32 v49, 0xbf52af12, v46
	v_add_f32_e32 v31, v28, v31
	v_dual_add_f32 v27, v29, v27 :: v_dual_add_f32 v38, v28, v38
	v_dual_add_f32 v26, v28, v26 :: v_dual_fmamk_f32 v45, v9, 0xbf788fa5, v10
	v_add_f32_e32 v41, v28, v41
	v_fmamk_f32 v47, v24, 0x3e750f2a, v23
	v_fma_f32 v9, 0xbf788fa5, v9, -v10
	v_dual_fmac_f32 v23, 0xbe750f2a, v24 :: v_dual_sub_f32 v10, v51, v17
	v_dual_fmamk_f32 v17, v48, 0x3f116cb1, v49 :: v_dual_mul_f32 v24, 0x3f116cb1, v8
	s_delay_alu instid0(VALU_DEP_3) | instskip(SKIP_2) | instid1(VALU_DEP_4)
	v_add_f32_e32 v9, v28, v9
	v_add_f32_e32 v39, v29, v39
	v_add_nc_u32_e32 v1, 0x400, v97
	v_add_f32_e32 v11, v17, v11
	v_fmamk_f32 v17, v10, 0x3f52af12, v24
	v_fmac_f32_e32 v24, 0xbf52af12, v10
	s_delay_alu instid0(VALU_DEP_2) | instskip(NEXT) | instid1(VALU_DEP_2)
	v_dual_add_f32 v17, v17, v18 :: v_dual_add_nc_u32 v0, 0x800, v97
	v_add_f32_e32 v24, v24, v27
	v_dual_add_f32 v45, v28, v45 :: v_dual_mul_f32 v28, 0xbf6f5d39, v46
	s_delay_alu instid0(VALU_DEP_1) | instskip(SKIP_1) | instid1(VALU_DEP_2)
	v_fmamk_f32 v18, v48, 0xbeb58ec6, v28
	v_fma_f32 v28, 0xbeb58ec6, v48, -v28
	v_add_f32_e32 v18, v18, v31
	v_add_f32_e32 v25, v29, v47
	s_delay_alu instid0(VALU_DEP_3) | instskip(NEXT) | instid1(VALU_DEP_1)
	v_dual_mul_f32 v47, 0xbeb58ec6, v8 :: v_dual_add_f32 v26, v28, v26
	v_fmamk_f32 v27, v10, 0x3f6f5d39, v47
	s_delay_alu instid0(VALU_DEP_1) | instskip(SKIP_3) | instid1(VALU_DEP_2)
	v_add_f32_e32 v27, v27, v32
	v_dual_mul_f32 v32, 0xbf788fa5, v8 :: v_dual_add_f32 v23, v29, v23
	v_fma_f32 v29, 0x3f116cb1, v48, -v49
	v_mul_f32_e32 v49, 0xbf3f9e67, v8
	v_add_f32_e32 v19, v29, v19
	v_mul_f32_e32 v29, 0xbe750f2a, v46
	s_delay_alu instid0(VALU_DEP_1) | instskip(NEXT) | instid1(VALU_DEP_1)
	v_fmamk_f32 v31, v48, 0xbf788fa5, v29
	v_dual_add_f32 v31, v31, v34 :: v_dual_fmamk_f32 v34, v10, 0x3e750f2a, v32
	v_fmac_f32_e32 v32, 0xbe750f2a, v10
	s_delay_alu instid0(VALU_DEP_2) | instskip(NEXT) | instid1(VALU_DEP_2)
	v_add_f32_e32 v34, v34, v37
	v_dual_add_f32 v32, v32, v35 :: v_dual_fmamk_f32 v35, v10, 0xbf29c268, v49
	v_mul_f32_e32 v37, 0x3f7e222b, v46
	s_delay_alu instid0(VALU_DEP_1) | instskip(NEXT) | instid1(VALU_DEP_1)
	v_dual_add_f32 v35, v35, v40 :: v_dual_fmamk_f32 v40, v48, 0x3df6dbef, v37
	v_dual_add_f32 v40, v40, v43 :: v_dual_fmac_f32 v47, 0xbf6f5d39, v10
	s_delay_alu instid0(VALU_DEP_1) | instskip(SKIP_2) | instid1(VALU_DEP_2)
	v_add_f32_e32 v28, v47, v30
	v_mul_f32_e32 v30, 0x3f29c268, v46
	v_mul_f32_e32 v46, 0x3eedf032, v46
	v_fmamk_f32 v47, v48, 0xbf3f9e67, v30
	v_fma_f32 v30, 0xbf3f9e67, v48, -v30
	s_delay_alu instid0(VALU_DEP_1) | instskip(SKIP_1) | instid1(VALU_DEP_1)
	v_dual_fmamk_f32 v43, v48, 0x3f62ad3f, v46 :: v_dual_add_f32 v30, v30, v36
	v_fma_f32 v29, 0xbf788fa5, v48, -v29
	v_add_f32_e32 v29, v29, v33
	v_dual_add_f32 v33, v47, v38 :: v_dual_mul_f32 v38, 0x3df6dbef, v8
	v_mul_f32_e32 v8, 0x3f62ad3f, v8
	s_delay_alu instid0(VALU_DEP_2) | instskip(SKIP_1) | instid1(VALU_DEP_2)
	v_fmamk_f32 v36, v10, 0xbf7e222b, v38
	v_fmac_f32_e32 v38, 0x3f7e222b, v10
	v_add_f32_e32 v36, v36, v44
	s_delay_alu instid0(VALU_DEP_2) | instskip(SKIP_2) | instid1(VALU_DEP_2)
	v_add_f32_e32 v38, v38, v42
	v_dual_add_f32 v42, v43, v45 :: v_dual_fmamk_f32 v43, v10, 0xbeedf032, v8
	v_add_f32_e32 v44, v52, v15
	v_dual_fmac_f32 v8, 0x3eedf032, v10 :: v_dual_add_f32 v25, v43, v25
	s_delay_alu instid0(VALU_DEP_1) | instskip(SKIP_2) | instid1(VALU_DEP_1)
	v_dual_fmac_f32 v49, 0x3f29c268, v10 :: v_dual_add_f32 v8, v8, v23
	v_sub_f32_e32 v10, v52, v15
	v_fma_f32 v37, 0x3df6dbef, v48, -v37
	v_add_f32_e32 v37, v37, v41
	v_sub_f32_e32 v41, v20, v16
	v_dual_add_f32 v16, v20, v16 :: v_dual_add_f32 v39, v49, v39
	v_fma_f32 v20, 0x3f62ad3f, v48, -v46
	s_delay_alu instid0(VALU_DEP_3) | instskip(NEXT) | instid1(VALU_DEP_3)
	v_mul_f32_e32 v45, 0xbf7e222b, v41
	v_mul_f32_e32 v46, 0x3df6dbef, v16
	v_mul_f32_e32 v43, 0xbf788fa5, v16
	s_delay_alu instid0(VALU_DEP_3) | instskip(SKIP_1) | instid1(VALU_DEP_2)
	v_fmamk_f32 v15, v44, 0x3df6dbef, v45
	v_fma_f32 v23, 0x3df6dbef, v44, -v45
	v_add_f32_e32 v11, v15, v11
	v_fmamk_f32 v15, v10, 0x3f7e222b, v46
	s_delay_alu instid0(VALU_DEP_3) | instskip(NEXT) | instid1(VALU_DEP_1)
	v_dual_fmac_f32 v46, 0xbf7e222b, v10 :: v_dual_add_f32 v19, v23, v19
	v_add_f32_e32 v23, v46, v24
	v_fmamk_f32 v24, v10, 0x3e750f2a, v43
	v_dual_mul_f32 v46, 0x3f62ad3f, v16 :: v_dual_add_f32 v9, v20, v9
	v_mul_f32_e32 v20, 0xbe750f2a, v41
	v_mul_f32_e32 v45, 0x3f6f5d39, v41
	v_add_f32_e32 v15, v15, v17
	v_fmac_f32_e32 v43, 0xbe750f2a, v10
	s_delay_alu instid0(VALU_DEP_4) | instskip(NEXT) | instid1(VALU_DEP_1)
	v_fmamk_f32 v17, v44, 0xbf788fa5, v20
	v_add_f32_e32 v17, v17, v18
	v_fma_f32 v18, 0xbf788fa5, v44, -v20
	v_add_f32_e32 v20, v24, v27
	v_dual_fmamk_f32 v24, v44, 0xbeb58ec6, v45 :: v_dual_mul_f32 v27, 0xbeb58ec6, v16
	s_delay_alu instid0(VALU_DEP_3) | instskip(SKIP_4) | instid1(VALU_DEP_3)
	v_add_f32_e32 v18, v18, v26
	v_add_f32_e32 v26, v43, v28
	v_mul_f32_e32 v28, 0x3eedf032, v41
	v_fma_f32 v43, 0xbeb58ec6, v44, -v45
	v_dual_add_f32 v24, v24, v31 :: v_dual_fmamk_f32 v31, v10, 0xbf6f5d39, v27
	v_fmamk_f32 v45, v44, 0x3f62ad3f, v28
	s_delay_alu instid0(VALU_DEP_3) | instskip(SKIP_3) | instid1(VALU_DEP_3)
	v_add_f32_e32 v29, v43, v29
	v_fma_f32 v28, 0x3f62ad3f, v44, -v28
	v_mul_f32_e32 v43, 0x3f116cb1, v16
	v_dual_add_f32 v31, v31, v34 :: v_dual_mul_f32 v34, 0xbf52af12, v41
	v_dual_mul_f32 v41, 0xbf29c268, v41 :: v_dual_add_f32 v28, v28, v30
	s_delay_alu instid0(VALU_DEP_3) | instskip(SKIP_1) | instid1(VALU_DEP_2)
	v_fmamk_f32 v30, v10, 0x3f52af12, v43
	v_mul_f32_e32 v16, 0xbf3f9e67, v16
	v_dual_fmac_f32 v43, 0xbf52af12, v10 :: v_dual_add_f32 v30, v30, v36
	s_delay_alu instid0(VALU_DEP_4) | instskip(NEXT) | instid1(VALU_DEP_2)
	v_fmamk_f32 v36, v44, 0xbf3f9e67, v41
	v_add_f32_e32 v38, v43, v38
	s_delay_alu instid0(VALU_DEP_2) | instskip(SKIP_2) | instid1(VALU_DEP_2)
	v_add_f32_e32 v36, v36, v42
	v_dual_fmac_f32 v27, 0x3f6f5d39, v10 :: v_dual_add_f32 v42, v54, v7
	v_sub_f32_e32 v7, v54, v7
	v_dual_add_f32 v27, v27, v32 :: v_dual_add_f32 v32, v45, v33
	v_fmamk_f32 v33, v10, 0xbeedf032, v46
	s_delay_alu instid0(VALU_DEP_1) | instskip(SKIP_2) | instid1(VALU_DEP_1)
	v_dual_fmac_f32 v46, 0x3eedf032, v10 :: v_dual_add_f32 v33, v33, v35
	v_fmamk_f32 v35, v44, 0x3f116cb1, v34
	v_fma_f32 v34, 0x3f116cb1, v44, -v34
	v_add_f32_e32 v34, v34, v37
	v_sub_f32_e32 v37, v22, v6
	v_add_f32_e32 v6, v22, v6
	v_fma_f32 v22, 0xbf3f9e67, v44, -v41
	s_delay_alu instid0(VALU_DEP_3) | instskip(SKIP_2) | instid1(VALU_DEP_3)
	v_mul_f32_e32 v43, 0xbf6f5d39, v37
	v_dual_add_f32 v35, v35, v40 :: v_dual_fmamk_f32 v40, v10, 0x3f29c268, v16
	v_fmac_f32_e32 v16, 0xbf29c268, v10
	v_dual_mul_f32 v41, 0xbeb58ec6, v6 :: v_dual_fmamk_f32 v10, v42, 0xbeb58ec6, v43
	s_delay_alu instid0(VALU_DEP_3) | instskip(SKIP_1) | instid1(VALU_DEP_3)
	v_dual_add_f32 v25, v40, v25 :: v_dual_mul_f32 v40, 0xbf3f9e67, v6
	v_add_f32_e32 v9, v22, v9
	v_dual_add_f32 v10, v10, v11 :: v_dual_fmamk_f32 v11, v7, 0x3f6f5d39, v41
	v_fma_f32 v22, 0xbeb58ec6, v42, -v43
	v_dual_fmac_f32 v41, 0xbf6f5d39, v7 :: v_dual_add_f32 v8, v16, v8
	s_delay_alu instid0(VALU_DEP_2) | instskip(NEXT) | instid1(VALU_DEP_2)
	v_add_f32_e32 v19, v22, v19
	v_dual_add_f32 v22, v41, v23 :: v_dual_fmamk_f32 v23, v7, 0xbf29c268, v40
	v_fmac_f32_e32 v40, 0x3f29c268, v7
	v_dual_add_f32 v39, v46, v39 :: v_dual_mul_f32 v16, 0x3f29c268, v37
	v_add_f32_e32 v11, v11, v15
	v_mul_f32_e32 v41, 0x3eedf032, v37
	s_delay_alu instid0(VALU_DEP_3) | instskip(SKIP_1) | instid1(VALU_DEP_1)
	v_fmamk_f32 v15, v42, 0xbf3f9e67, v16
	v_fma_f32 v16, 0xbf3f9e67, v42, -v16
	v_dual_add_f32 v15, v15, v17 :: v_dual_add_f32 v16, v16, v18
	v_add_f32_e32 v18, v40, v26
	v_fma_f32 v40, 0x3f62ad3f, v42, -v41
	v_mul_f32_e32 v26, 0xbf7e222b, v37
	v_mul_f32_e32 v43, 0x3df6dbef, v6
	s_delay_alu instid0(VALU_DEP_3)
	v_dual_add_f32 v29, v40, v29 :: v_dual_mul_f32 v40, 0xbf788fa5, v6
	v_dual_add_f32 v17, v23, v20 :: v_dual_fmamk_f32 v20, v42, 0x3f62ad3f, v41
	v_mul_f32_e32 v23, 0x3f62ad3f, v6
	v_fmamk_f32 v41, v42, 0x3df6dbef, v26
	v_fma_f32 v26, 0x3df6dbef, v42, -v26
	v_mul_f32_e32 v6, 0x3f116cb1, v6
	v_add_f32_e32 v20, v20, v24
	v_fmamk_f32 v24, v7, 0xbeedf032, v23
	s_delay_alu instid0(VALU_DEP_4) | instskip(SKIP_2) | instid1(VALU_DEP_4)
	v_dual_fmac_f32 v23, 0x3eedf032, v7 :: v_dual_add_f32 v26, v26, v28
	v_fmamk_f32 v28, v7, 0xbe750f2a, v40
	v_fmac_f32_e32 v40, 0x3e750f2a, v7
	v_add_f32_e32 v24, v24, v31
	s_delay_alu instid0(VALU_DEP_4) | instskip(SKIP_4) | instid1(VALU_DEP_3)
	v_add_f32_e32 v23, v23, v27
	v_dual_add_f32 v27, v41, v32 :: v_dual_mul_f32 v32, 0x3e750f2a, v37
	v_fmamk_f32 v31, v7, 0x3f7e222b, v43
	v_dual_mul_f32 v37, 0x3f52af12, v37 :: v_dual_add_f32 v28, v28, v30
	v_fmac_f32_e32 v43, 0xbf7e222b, v7
	v_add_f32_e32 v31, v31, v33
	v_fmamk_f32 v33, v42, 0xbf788fa5, v32
	v_fma_f32 v32, 0xbf788fa5, v42, -v32
	s_delay_alu instid0(VALU_DEP_2) | instskip(NEXT) | instid1(VALU_DEP_2)
	v_dual_fmamk_f32 v30, v42, 0x3f116cb1, v37 :: v_dual_add_f32 v33, v33, v35
	v_add_f32_e32 v32, v32, v34
	v_dual_sub_f32 v34, v13, v5 :: v_dual_add_f32 v35, v40, v38
	s_delay_alu instid0(VALU_DEP_3) | instskip(SKIP_2) | instid1(VALU_DEP_4)
	v_add_f32_e32 v30, v30, v36
	v_fmamk_f32 v36, v7, 0xbf52af12, v6
	v_add_f32_e32 v38, v21, v14
	v_mul_f32_e32 v40, 0xbf29c268, v34
	v_dual_fmac_f32 v6, 0x3f52af12, v7 :: v_dual_sub_f32 v7, v21, v14
	v_add_f32_e32 v5, v13, v5
	v_fma_f32 v13, 0x3f116cb1, v42, -v37
	s_delay_alu instid0(VALU_DEP_4) | instskip(NEXT) | instid1(VALU_DEP_3)
	v_dual_fmamk_f32 v14, v38, 0xbf3f9e67, v40 :: v_dual_add_f32 v25, v36, v25
	v_dual_add_f32 v6, v6, v8 :: v_dual_mul_f32 v21, 0xbf3f9e67, v5
	s_delay_alu instid0(VALU_DEP_2) | instskip(SKIP_2) | instid1(VALU_DEP_4)
	v_dual_add_f32 v9, v13, v9 :: v_dual_add_f32 v8, v14, v10
	v_mul_f32_e32 v13, 0x3f7e222b, v34
	v_fma_f32 v14, 0xbf3f9e67, v38, -v40
	v_fmamk_f32 v10, v7, 0x3f29c268, v21
	v_fmac_f32_e32 v21, 0xbf29c268, v7
	v_mul_f32_e32 v36, 0x3df6dbef, v5
	s_delay_alu instid0(VALU_DEP_4) | instskip(NEXT) | instid1(VALU_DEP_4)
	v_dual_mul_f32 v37, 0xbf788fa5, v5 :: v_dual_add_f32 v14, v14, v19
	v_add_f32_e32 v10, v10, v11
	v_fmamk_f32 v11, v38, 0x3df6dbef, v13
	v_add_f32_e32 v19, v21, v22
	v_fmamk_f32 v21, v7, 0xbf7e222b, v36
	v_fma_f32 v13, 0x3df6dbef, v38, -v13
	v_fmac_f32_e32 v36, 0x3f7e222b, v7
	v_dual_mul_f32 v22, 0xbf52af12, v34 :: v_dual_add_f32 v11, v11, v15
	s_delay_alu instid0(VALU_DEP_2) | instskip(SKIP_1) | instid1(VALU_DEP_1)
	v_dual_add_f32 v13, v13, v16 :: v_dual_add_f32 v16, v36, v18
	v_dual_add_f32 v39, v43, v39 :: v_dual_mul_f32 v18, 0x3e750f2a, v34
	v_dual_fmamk_f32 v36, v38, 0xbf788fa5, v18 :: v_dual_add_f32 v15, v21, v17
	s_delay_alu instid0(VALU_DEP_4) | instskip(SKIP_3) | instid1(VALU_DEP_3)
	v_fmamk_f32 v17, v38, 0x3f116cb1, v22
	v_mul_f32_e32 v21, 0x3f116cb1, v5
	v_fma_f32 v22, 0x3f116cb1, v38, -v22
	v_fma_f32 v18, 0xbf788fa5, v38, -v18
	v_dual_add_f32 v17, v17, v20 :: v_dual_fmamk_f32 v20, v7, 0x3f52af12, v21
	s_delay_alu instid0(VALU_DEP_3) | instskip(NEXT) | instid1(VALU_DEP_3)
	v_dual_fmac_f32 v21, 0xbf52af12, v7 :: v_dual_add_f32 v22, v22, v29
	v_dual_mul_f32 v29, 0x3f62ad3f, v5 :: v_dual_add_f32 v18, v18, v26
	v_mul_f32_e32 v5, 0xbeb58ec6, v5
	s_delay_alu instid0(VALU_DEP_3)
	v_add_f32_e32 v21, v21, v23
	v_add_f32_e32 v23, v36, v27
	v_mul_f32_e32 v27, 0x3eedf032, v34
	v_fmamk_f32 v26, v7, 0xbeedf032, v29
	v_mul_f32_e32 v34, 0xbf6f5d39, v34
	v_add_f32_e32 v20, v20, v24
	v_fmamk_f32 v24, v7, 0xbe750f2a, v37
	s_delay_alu instid0(VALU_DEP_4) | instskip(NEXT) | instid1(VALU_DEP_4)
	v_dual_fmac_f32 v37, 0x3e750f2a, v7 :: v_dual_add_f32 v26, v26, v28
	v_fmamk_f32 v28, v38, 0xbeb58ec6, v34
	s_delay_alu instid0(VALU_DEP_3) | instskip(SKIP_1) | instid1(VALU_DEP_3)
	v_dual_add_f32 v24, v24, v31 :: v_dual_fmamk_f32 v31, v38, 0x3f62ad3f, v27
	v_fma_f32 v27, 0x3f62ad3f, v38, -v27
	v_add_f32_e32 v28, v28, v30
	v_fmamk_f32 v30, v7, 0x3f6f5d39, v5
	v_fmac_f32_e32 v5, 0xbf6f5d39, v7
	s_delay_alu instid0(VALU_DEP_4)
	v_dual_add_f32 v36, v37, v39 :: v_dual_add_f32 v27, v27, v32
	v_sub_f32_e32 v32, v12, v4
	v_add_f32_e32 v37, v12, v4
	v_fma_f32 v4, 0xbeb58ec6, v38, -v34
	v_dual_add_f32 v38, v5, v6 :: v_dual_fmac_f32 v29, 0x3eedf032, v7
	v_add_f32_e32 v31, v31, v33
	v_add_f32_e32 v33, v2, v3
	v_dual_sub_f32 v34, v2, v3 :: v_dual_mul_f32 v7, 0xbf788fa5, v37
	s_delay_alu instid0(VALU_DEP_4) | instskip(SKIP_2) | instid1(VALU_DEP_4)
	v_dual_add_f32 v29, v29, v35 :: v_dual_mul_f32 v12, 0xbf29c268, v32
	v_mul_f32_e32 v35, 0xbe750f2a, v32
	v_add_f32_e32 v25, v30, v25
	v_dual_add_f32 v30, v4, v9 :: v_dual_fmamk_f32 v3, v34, 0x3e750f2a, v7
	s_delay_alu instid0(VALU_DEP_3) | instskip(NEXT) | instid1(VALU_DEP_2)
	v_fma_f32 v4, 0xbf788fa5, v33, -v35
	v_add_f32_e32 v3, v3, v10
	s_delay_alu instid0(VALU_DEP_2) | instskip(SKIP_3) | instid1(VALU_DEP_2)
	v_add_f32_e32 v4, v4, v14
	v_mul_f32_e32 v14, 0xbf3f9e67, v37
	v_fmamk_f32 v10, v33, 0xbf3f9e67, v12
	v_fma_f32 v12, 0xbf3f9e67, v33, -v12
	v_add_f32_e32 v10, v10, v17
	v_fmamk_f32 v2, v33, 0xbf788fa5, v35
	s_delay_alu instid0(VALU_DEP_3) | instskip(NEXT) | instid1(VALU_DEP_2)
	v_add_f32_e32 v12, v12, v22
	v_add_f32_e32 v2, v2, v8
	v_mul_f32_e32 v8, 0x3eedf032, v32
	v_fmac_f32_e32 v7, 0xbe750f2a, v34
	s_delay_alu instid0(VALU_DEP_1) | instskip(SKIP_1) | instid1(VALU_DEP_2)
	v_dual_fmamk_f32 v6, v33, 0x3f62ad3f, v8 :: v_dual_add_f32 v5, v7, v19
	v_fma_f32 v8, 0x3f62ad3f, v33, -v8
	v_dual_mul_f32 v19, 0xbf6f5d39, v32 :: v_dual_add_f32 v6, v6, v11
	v_fmamk_f32 v11, v34, 0x3f29c268, v14
	v_fmac_f32_e32 v14, 0xbf29c268, v34
	s_delay_alu instid0(VALU_DEP_3)
	v_fmamk_f32 v22, v33, 0xbeb58ec6, v19
	v_mul_f32_e32 v9, 0x3f62ad3f, v37
	v_add_f32_e32 v8, v8, v13
	v_mul_f32_e32 v17, 0x3f116cb1, v37
	v_add_f32_e32 v13, v14, v21
	v_mul_f32_e32 v21, 0xbeb58ec6, v37
	v_fmamk_f32 v7, v34, 0xbeedf032, v9
	v_fmac_f32_e32 v9, 0x3eedf032, v34
	v_add_f32_e32 v11, v11, v20
	s_delay_alu instid0(VALU_DEP_3) | instskip(SKIP_1) | instid1(VALU_DEP_4)
	v_add_f32_e32 v7, v7, v15
	v_mul_f32_e32 v15, 0x3f52af12, v32
	v_add_f32_e32 v9, v9, v16
	s_delay_alu instid0(VALU_DEP_2) | instskip(SKIP_1) | instid1(VALU_DEP_2)
	v_fmamk_f32 v16, v33, 0x3f116cb1, v15
	v_fma_f32 v20, 0x3f116cb1, v33, -v15
	v_add_f32_e32 v14, v16, v23
	v_fmamk_f32 v16, v34, 0xbf52af12, v17
	v_fma_f32 v23, 0xbeb58ec6, v33, -v19
	v_fmac_f32_e32 v17, 0x3f52af12, v34
	s_delay_alu instid0(VALU_DEP_3)
	v_add_f32_e32 v15, v16, v24
	v_add_f32_e32 v16, v20, v18
	v_fmamk_f32 v20, v34, 0x3f6f5d39, v21
	v_add_f32_e32 v18, v22, v31
	v_mul_f32_e32 v22, 0x3f7e222b, v32
	v_mul_f32_e32 v31, 0x3df6dbef, v37
	v_fmac_f32_e32 v21, 0xbf6f5d39, v34
	v_dual_add_f32 v19, v20, v26 :: v_dual_add_f32 v20, v23, v27
	s_delay_alu instid0(VALU_DEP_4) | instskip(NEXT) | instid1(VALU_DEP_4)
	v_fmamk_f32 v23, v33, 0x3df6dbef, v22
	v_fmamk_f32 v24, v34, 0xbf7e222b, v31
	v_fma_f32 v26, 0x3df6dbef, v33, -v22
	v_fmac_f32_e32 v31, 0x3f7e222b, v34
	s_delay_alu instid0(VALU_DEP_4) | instskip(NEXT) | instid1(VALU_DEP_3)
	v_dual_add_f32 v21, v21, v29 :: v_dual_add_f32 v22, v23, v28
	v_dual_add_f32 v23, v24, v25 :: v_dual_add_f32 v24, v26, v30
	s_delay_alu instid0(VALU_DEP_3)
	v_add_f32_e32 v25, v31, v38
	v_add_f32_e32 v17, v17, v36
	ds_store_2addr_b64 v97, v[2:3], v[6:7] offset0:34 offset1:68
	ds_store_2addr_b64 v97, v[10:11], v[14:15] offset0:102 offset1:136
	;; [unrolled: 1-line block ×6, first 2 shown]
	global_wb scope:SCOPE_SE
	s_wait_dscnt 0x0
	s_barrier_signal -1
	s_barrier_wait -1
	global_inv scope:SCOPE_SE
	s_and_b32 exec_lo, exec_lo, vcc_lo
	s_cbranch_execz .LBB0_23
; %bb.22:
	global_load_b64 v[2:3], v92, s[12:13]
	ds_load_b64 v[4:5], v97
	v_mad_co_u64_u32 v[8:9], null, s4, v93, 0
	s_mov_b32 s0, 0x1288b013
	s_mov_b32 s1, 0x3f6288b0
	s_mul_u64 s[2:3], s[4:5], 0xd0
	s_wait_loadcnt_dscnt 0x0
	v_mul_f32_e32 v6, v5, v3
	v_mul_f32_e32 v3, v4, v3
	s_delay_alu instid0(VALU_DEP_2) | instskip(NEXT) | instid1(VALU_DEP_2)
	v_fmac_f32_e32 v6, v4, v2
	v_fma_f32 v4, v2, v5, -v3
	s_delay_alu instid0(VALU_DEP_2) | instskip(NEXT) | instid1(VALU_DEP_2)
	v_cvt_f64_f32_e32 v[2:3], v6
	v_cvt_f64_f32_e32 v[4:5], v4
	v_mad_co_u64_u32 v[6:7], null, s6, v56, 0
	s_wait_alu 0xfffe
	s_delay_alu instid0(VALU_DEP_3) | instskip(NEXT) | instid1(VALU_DEP_3)
	v_mul_f64_e32 v[2:3], s[0:1], v[2:3]
	v_mul_f64_e32 v[4:5], s[0:1], v[4:5]
	s_delay_alu instid0(VALU_DEP_2) | instskip(NEXT) | instid1(VALU_DEP_2)
	v_cvt_f32_f64_e32 v2, v[2:3]
	v_cvt_f32_f64_e32 v3, v[4:5]
	v_dual_mov_b32 v5, v9 :: v_dual_mov_b32 v4, v7
	s_delay_alu instid0(VALU_DEP_1) | instskip(SKIP_1) | instid1(VALU_DEP_2)
	v_mad_co_u64_u32 v[9:10], null, s7, v56, v[4:5]
	v_mad_co_u64_u32 v[4:5], null, s5, v93, v[5:6]
	v_mov_b32_e32 v7, v9
	s_delay_alu instid0(VALU_DEP_2) | instskip(NEXT) | instid1(VALU_DEP_2)
	v_mov_b32_e32 v9, v4
	v_lshlrev_b64_e32 v[4:5], 3, v[6:7]
	s_delay_alu instid0(VALU_DEP_2) | instskip(NEXT) | instid1(VALU_DEP_2)
	v_lshlrev_b64_e32 v[6:7], 3, v[8:9]
	v_add_co_u32 v10, vcc_lo, s14, v4
	s_delay_alu instid0(VALU_DEP_3) | instskip(NEXT) | instid1(VALU_DEP_2)
	v_add_co_ci_u32_e32 v11, vcc_lo, s15, v5, vcc_lo
	v_add_co_u32 v6, vcc_lo, v10, v6
	s_wait_alu 0xfffd
	s_delay_alu instid0(VALU_DEP_2)
	v_add_co_ci_u32_e32 v7, vcc_lo, v11, v7, vcc_lo
	global_store_b64 v[6:7], v[2:3], off
	global_load_b64 v[8:9], v92, s[12:13] offset:208
	ds_load_2addr_b64 v[2:5], v97 offset0:26 offset1:52
	v_add_co_u32 v6, vcc_lo, v6, s2
	s_wait_alu 0xfffd
	v_add_co_ci_u32_e32 v7, vcc_lo, s3, v7, vcc_lo
	s_wait_loadcnt_dscnt 0x0
	v_mul_f32_e32 v12, v3, v9
	v_mul_f32_e32 v9, v2, v9
	s_delay_alu instid0(VALU_DEP_2) | instskip(NEXT) | instid1(VALU_DEP_2)
	v_fmac_f32_e32 v12, v2, v8
	v_fma_f32 v8, v8, v3, -v9
	s_delay_alu instid0(VALU_DEP_2) | instskip(NEXT) | instid1(VALU_DEP_2)
	v_cvt_f64_f32_e32 v[2:3], v12
	v_cvt_f64_f32_e32 v[8:9], v8
	s_delay_alu instid0(VALU_DEP_2) | instskip(NEXT) | instid1(VALU_DEP_2)
	v_mul_f64_e32 v[2:3], s[0:1], v[2:3]
	v_mul_f64_e32 v[8:9], s[0:1], v[8:9]
	s_delay_alu instid0(VALU_DEP_2) | instskip(NEXT) | instid1(VALU_DEP_2)
	v_cvt_f32_f64_e32 v2, v[2:3]
	v_cvt_f32_f64_e32 v3, v[8:9]
	global_store_b64 v[6:7], v[2:3], off
	global_load_b64 v[2:3], v92, s[12:13] offset:416
	v_add_co_u32 v6, vcc_lo, v6, s2
	s_wait_alu 0xfffd
	v_add_co_ci_u32_e32 v7, vcc_lo, s3, v7, vcc_lo
	s_wait_loadcnt 0x0
	v_mul_f32_e32 v8, v5, v3
	v_mul_f32_e32 v3, v4, v3
	s_delay_alu instid0(VALU_DEP_2) | instskip(NEXT) | instid1(VALU_DEP_2)
	v_fmac_f32_e32 v8, v4, v2
	v_fma_f32 v4, v2, v5, -v3
	s_delay_alu instid0(VALU_DEP_2) | instskip(NEXT) | instid1(VALU_DEP_2)
	v_cvt_f64_f32_e32 v[2:3], v8
	v_cvt_f64_f32_e32 v[4:5], v4
	s_delay_alu instid0(VALU_DEP_2) | instskip(NEXT) | instid1(VALU_DEP_2)
	v_mul_f64_e32 v[2:3], s[0:1], v[2:3]
	v_mul_f64_e32 v[4:5], s[0:1], v[4:5]
	s_delay_alu instid0(VALU_DEP_2) | instskip(NEXT) | instid1(VALU_DEP_2)
	v_cvt_f32_f64_e32 v2, v[2:3]
	v_cvt_f32_f64_e32 v3, v[4:5]
	global_store_b64 v[6:7], v[2:3], off
	global_load_b64 v[8:9], v92, s[12:13] offset:624
	ds_load_2addr_b64 v[2:5], v97 offset0:78 offset1:104
	v_add_co_u32 v6, vcc_lo, v6, s2
	s_wait_alu 0xfffd
	v_add_co_ci_u32_e32 v7, vcc_lo, s3, v7, vcc_lo
	s_wait_loadcnt_dscnt 0x0
	v_mul_f32_e32 v12, v3, v9
	v_mul_f32_e32 v9, v2, v9
	s_delay_alu instid0(VALU_DEP_2) | instskip(NEXT) | instid1(VALU_DEP_2)
	v_fmac_f32_e32 v12, v2, v8
	v_fma_f32 v8, v8, v3, -v9
	s_delay_alu instid0(VALU_DEP_2) | instskip(NEXT) | instid1(VALU_DEP_2)
	v_cvt_f64_f32_e32 v[2:3], v12
	v_cvt_f64_f32_e32 v[8:9], v8
	s_delay_alu instid0(VALU_DEP_2) | instskip(NEXT) | instid1(VALU_DEP_2)
	v_mul_f64_e32 v[2:3], s[0:1], v[2:3]
	v_mul_f64_e32 v[8:9], s[0:1], v[8:9]
	s_delay_alu instid0(VALU_DEP_2) | instskip(NEXT) | instid1(VALU_DEP_2)
	v_cvt_f32_f64_e32 v2, v[2:3]
	v_cvt_f32_f64_e32 v3, v[8:9]
	global_store_b64 v[6:7], v[2:3], off
	global_load_b64 v[2:3], v92, s[12:13] offset:832
	v_add_co_u32 v6, vcc_lo, v6, s2
	s_wait_alu 0xfffd
	v_add_co_ci_u32_e32 v7, vcc_lo, s3, v7, vcc_lo
	s_wait_loadcnt 0x0
	v_mul_f32_e32 v8, v5, v3
	v_mul_f32_e32 v3, v4, v3
	s_delay_alu instid0(VALU_DEP_2) | instskip(NEXT) | instid1(VALU_DEP_2)
	v_fmac_f32_e32 v8, v4, v2
	v_fma_f32 v4, v2, v5, -v3
	s_delay_alu instid0(VALU_DEP_2) | instskip(NEXT) | instid1(VALU_DEP_2)
	v_cvt_f64_f32_e32 v[2:3], v8
	v_cvt_f64_f32_e32 v[4:5], v4
	s_delay_alu instid0(VALU_DEP_2) | instskip(NEXT) | instid1(VALU_DEP_2)
	v_mul_f64_e32 v[2:3], s[0:1], v[2:3]
	v_mul_f64_e32 v[4:5], s[0:1], v[4:5]
	s_delay_alu instid0(VALU_DEP_2) | instskip(NEXT) | instid1(VALU_DEP_2)
	v_cvt_f32_f64_e32 v2, v[2:3]
	v_cvt_f32_f64_e32 v3, v[4:5]
	;; [unrolled: 41-line block ×3, first 2 shown]
	global_store_b64 v[6:7], v[2:3], off
	global_load_b64 v[8:9], v92, s[12:13] offset:1456
	ds_load_2addr_b64 v[2:5], v97 offset0:182 offset1:208
	v_add_co_u32 v6, vcc_lo, v6, s2
	s_wait_alu 0xfffd
	v_add_co_ci_u32_e32 v7, vcc_lo, s3, v7, vcc_lo
	s_wait_loadcnt_dscnt 0x0
	v_mul_f32_e32 v12, v3, v9
	v_mul_f32_e32 v9, v2, v9
	s_delay_alu instid0(VALU_DEP_2) | instskip(NEXT) | instid1(VALU_DEP_2)
	v_fmac_f32_e32 v12, v2, v8
	v_fma_f32 v8, v8, v3, -v9
	s_delay_alu instid0(VALU_DEP_2) | instskip(NEXT) | instid1(VALU_DEP_2)
	v_cvt_f64_f32_e32 v[2:3], v12
	v_cvt_f64_f32_e32 v[8:9], v8
	s_delay_alu instid0(VALU_DEP_2) | instskip(NEXT) | instid1(VALU_DEP_2)
	v_mul_f64_e32 v[2:3], s[0:1], v[2:3]
	v_mul_f64_e32 v[8:9], s[0:1], v[8:9]
	s_delay_alu instid0(VALU_DEP_2) | instskip(NEXT) | instid1(VALU_DEP_2)
	v_cvt_f32_f64_e32 v2, v[2:3]
	v_cvt_f32_f64_e32 v3, v[8:9]
	global_store_b64 v[6:7], v[2:3], off
	global_load_b64 v[2:3], v92, s[12:13] offset:1664
	s_wait_loadcnt 0x0
	v_mul_f32_e32 v8, v5, v3
	v_mul_f32_e32 v3, v4, v3
	s_delay_alu instid0(VALU_DEP_2) | instskip(NEXT) | instid1(VALU_DEP_2)
	v_fmac_f32_e32 v8, v4, v2
	v_fma_f32 v4, v2, v5, -v3
	s_delay_alu instid0(VALU_DEP_2) | instskip(NEXT) | instid1(VALU_DEP_2)
	v_cvt_f64_f32_e32 v[2:3], v8
	v_cvt_f64_f32_e32 v[4:5], v4
	s_delay_alu instid0(VALU_DEP_2) | instskip(NEXT) | instid1(VALU_DEP_2)
	v_mul_f64_e32 v[2:3], s[0:1], v[2:3]
	v_mul_f64_e32 v[4:5], s[0:1], v[4:5]
	s_delay_alu instid0(VALU_DEP_2) | instskip(NEXT) | instid1(VALU_DEP_2)
	v_cvt_f32_f64_e32 v2, v[2:3]
	v_cvt_f32_f64_e32 v3, v[4:5]
	v_add_co_u32 v5, vcc_lo, v6, s2
	s_wait_alu 0xfffd
	v_add_co_ci_u32_e32 v6, vcc_lo, s3, v7, vcc_lo
	global_store_b64 v[5:6], v[2:3], off
	global_load_b64 v[7:8], v92, s[12:13] offset:1872
	ds_load_2addr_b64 v[1:4], v1 offset0:106 offset1:132
	v_add_co_u32 v5, vcc_lo, v5, s2
	s_wait_alu 0xfffd
	v_add_co_ci_u32_e32 v6, vcc_lo, s3, v6, vcc_lo
	s_wait_loadcnt_dscnt 0x0
	v_mul_f32_e32 v9, v2, v8
	v_mul_f32_e32 v8, v1, v8
	s_delay_alu instid0(VALU_DEP_2) | instskip(NEXT) | instid1(VALU_DEP_2)
	v_fmac_f32_e32 v9, v1, v7
	v_fma_f32 v7, v7, v2, -v8
	s_delay_alu instid0(VALU_DEP_2) | instskip(NEXT) | instid1(VALU_DEP_2)
	v_cvt_f64_f32_e32 v[1:2], v9
	v_cvt_f64_f32_e32 v[7:8], v7
	s_delay_alu instid0(VALU_DEP_2) | instskip(NEXT) | instid1(VALU_DEP_2)
	v_mul_f64_e32 v[1:2], s[0:1], v[1:2]
	v_mul_f64_e32 v[7:8], s[0:1], v[7:8]
	s_delay_alu instid0(VALU_DEP_2) | instskip(NEXT) | instid1(VALU_DEP_2)
	v_cvt_f32_f64_e32 v1, v[1:2]
	v_cvt_f32_f64_e32 v2, v[7:8]
	global_store_b64 v[5:6], v[1:2], off
	global_load_b64 v[1:2], v92, s[12:13] offset:2080
	v_add_co_u32 v5, vcc_lo, v5, s2
	s_wait_alu 0xfffd
	v_add_co_ci_u32_e32 v6, vcc_lo, s3, v6, vcc_lo
	s_wait_loadcnt 0x0
	v_mul_f32_e32 v7, v4, v2
	v_mul_f32_e32 v2, v3, v2
	s_delay_alu instid0(VALU_DEP_2) | instskip(NEXT) | instid1(VALU_DEP_2)
	v_fmac_f32_e32 v7, v3, v1
	v_fma_f32 v3, v1, v4, -v2
	s_delay_alu instid0(VALU_DEP_2) | instskip(NEXT) | instid1(VALU_DEP_2)
	v_cvt_f64_f32_e32 v[1:2], v7
	v_cvt_f64_f32_e32 v[3:4], v3
	s_delay_alu instid0(VALU_DEP_2) | instskip(NEXT) | instid1(VALU_DEP_2)
	v_mul_f64_e32 v[1:2], s[0:1], v[1:2]
	v_mul_f64_e32 v[3:4], s[0:1], v[3:4]
	s_delay_alu instid0(VALU_DEP_2) | instskip(NEXT) | instid1(VALU_DEP_2)
	v_cvt_f32_f64_e32 v1, v[1:2]
	v_cvt_f32_f64_e32 v2, v[3:4]
	global_store_b64 v[5:6], v[1:2], off
	global_load_b64 v[7:8], v92, s[12:13] offset:2288
	ds_load_2addr_b64 v[1:4], v0 offset0:30 offset1:56
	v_add_co_u32 v5, vcc_lo, v5, s2
	s_wait_alu 0xfffd
	v_add_co_ci_u32_e32 v6, vcc_lo, s3, v6, vcc_lo
	s_wait_loadcnt_dscnt 0x0
	v_mul_f32_e32 v9, v2, v8
	v_mul_f32_e32 v8, v1, v8
	s_delay_alu instid0(VALU_DEP_2) | instskip(NEXT) | instid1(VALU_DEP_2)
	v_fmac_f32_e32 v9, v1, v7
	v_fma_f32 v7, v7, v2, -v8
	s_delay_alu instid0(VALU_DEP_2) | instskip(NEXT) | instid1(VALU_DEP_2)
	v_cvt_f64_f32_e32 v[1:2], v9
	v_cvt_f64_f32_e32 v[7:8], v7
	s_delay_alu instid0(VALU_DEP_2) | instskip(NEXT) | instid1(VALU_DEP_2)
	v_mul_f64_e32 v[1:2], s[0:1], v[1:2]
	v_mul_f64_e32 v[7:8], s[0:1], v[7:8]
	s_delay_alu instid0(VALU_DEP_2) | instskip(NEXT) | instid1(VALU_DEP_2)
	v_cvt_f32_f64_e32 v1, v[1:2]
	v_cvt_f32_f64_e32 v2, v[7:8]
	global_store_b64 v[5:6], v[1:2], off
	global_load_b64 v[1:2], v92, s[12:13] offset:2496
	v_add_co_u32 v5, vcc_lo, v5, s2
	s_wait_alu 0xfffd
	v_add_co_ci_u32_e32 v6, vcc_lo, s3, v6, vcc_lo
	s_wait_loadcnt 0x0
	v_mul_f32_e32 v7, v4, v2
	v_mul_f32_e32 v2, v3, v2
	s_delay_alu instid0(VALU_DEP_2) | instskip(NEXT) | instid1(VALU_DEP_2)
	v_fmac_f32_e32 v7, v3, v1
	v_fma_f32 v3, v1, v4, -v2
	s_delay_alu instid0(VALU_DEP_2) | instskip(NEXT) | instid1(VALU_DEP_2)
	v_cvt_f64_f32_e32 v[1:2], v7
	v_cvt_f64_f32_e32 v[3:4], v3
	s_delay_alu instid0(VALU_DEP_2) | instskip(NEXT) | instid1(VALU_DEP_2)
	v_mul_f64_e32 v[1:2], s[0:1], v[1:2]
	v_mul_f64_e32 v[3:4], s[0:1], v[3:4]
	s_delay_alu instid0(VALU_DEP_2) | instskip(NEXT) | instid1(VALU_DEP_2)
	v_cvt_f32_f64_e32 v1, v[1:2]
	v_cvt_f32_f64_e32 v2, v[3:4]
	global_store_b64 v[5:6], v[1:2], off
	global_load_b64 v[7:8], v92, s[12:13] offset:2704
	ds_load_2addr_b64 v[1:4], v0 offset0:82 offset1:108
	v_add_co_u32 v5, vcc_lo, v5, s2
	s_wait_alu 0xfffd
	v_add_co_ci_u32_e32 v6, vcc_lo, s3, v6, vcc_lo
	s_wait_loadcnt_dscnt 0x0
	v_mul_f32_e32 v9, v2, v8
	v_mul_f32_e32 v8, v1, v8
	s_delay_alu instid0(VALU_DEP_2) | instskip(NEXT) | instid1(VALU_DEP_2)
	v_fmac_f32_e32 v9, v1, v7
	v_fma_f32 v7, v7, v2, -v8
	s_delay_alu instid0(VALU_DEP_2) | instskip(NEXT) | instid1(VALU_DEP_2)
	v_cvt_f64_f32_e32 v[1:2], v9
	v_cvt_f64_f32_e32 v[7:8], v7
	s_delay_alu instid0(VALU_DEP_2) | instskip(NEXT) | instid1(VALU_DEP_2)
	v_mul_f64_e32 v[1:2], s[0:1], v[1:2]
	v_mul_f64_e32 v[7:8], s[0:1], v[7:8]
	s_delay_alu instid0(VALU_DEP_2) | instskip(NEXT) | instid1(VALU_DEP_2)
	v_cvt_f32_f64_e32 v1, v[1:2]
	v_cvt_f32_f64_e32 v2, v[7:8]
	global_store_b64 v[5:6], v[1:2], off
	global_load_b64 v[1:2], v92, s[12:13] offset:2912
	s_wait_loadcnt 0x0
	v_mul_f32_e32 v7, v4, v2
	v_mul_f32_e32 v2, v3, v2
	s_delay_alu instid0(VALU_DEP_2) | instskip(NEXT) | instid1(VALU_DEP_2)
	v_fmac_f32_e32 v7, v3, v1
	v_fma_f32 v3, v1, v4, -v2
	s_delay_alu instid0(VALU_DEP_2) | instskip(NEXT) | instid1(VALU_DEP_2)
	v_cvt_f64_f32_e32 v[1:2], v7
	v_cvt_f64_f32_e32 v[3:4], v3
	s_delay_alu instid0(VALU_DEP_2) | instskip(NEXT) | instid1(VALU_DEP_2)
	v_mul_f64_e32 v[1:2], s[0:1], v[1:2]
	v_mul_f64_e32 v[3:4], s[0:1], v[3:4]
	s_delay_alu instid0(VALU_DEP_2) | instskip(NEXT) | instid1(VALU_DEP_2)
	v_cvt_f32_f64_e32 v1, v[1:2]
	v_cvt_f32_f64_e32 v2, v[3:4]
	v_add_co_u32 v4, vcc_lo, v5, s2
	s_wait_alu 0xfffd
	v_add_co_ci_u32_e32 v5, vcc_lo, s3, v6, vcc_lo
	global_store_b64 v[4:5], v[1:2], off
	global_load_b64 v[6:7], v92, s[12:13] offset:3120
	ds_load_2addr_b64 v[0:3], v0 offset0:134 offset1:160
	v_add_co_u32 v4, vcc_lo, v4, s2
	s_wait_alu 0xfffd
	v_add_co_ci_u32_e32 v5, vcc_lo, s3, v5, vcc_lo
	s_wait_loadcnt_dscnt 0x0
	v_mul_f32_e32 v8, v1, v7
	v_mul_f32_e32 v7, v0, v7
	s_delay_alu instid0(VALU_DEP_2) | instskip(NEXT) | instid1(VALU_DEP_2)
	v_fmac_f32_e32 v8, v0, v6
	v_fma_f32 v6, v6, v1, -v7
	s_delay_alu instid0(VALU_DEP_2) | instskip(NEXT) | instid1(VALU_DEP_2)
	v_cvt_f64_f32_e32 v[0:1], v8
	v_cvt_f64_f32_e32 v[6:7], v6
	s_delay_alu instid0(VALU_DEP_2) | instskip(NEXT) | instid1(VALU_DEP_2)
	v_mul_f64_e32 v[0:1], s[0:1], v[0:1]
	v_mul_f64_e32 v[6:7], s[0:1], v[6:7]
	s_delay_alu instid0(VALU_DEP_2) | instskip(NEXT) | instid1(VALU_DEP_2)
	v_cvt_f32_f64_e32 v0, v[0:1]
	v_cvt_f32_f64_e32 v1, v[6:7]
	global_store_b64 v[4:5], v[0:1], off
	global_load_b64 v[0:1], v92, s[12:13] offset:3328
	s_wait_loadcnt 0x0
	v_mul_f32_e32 v4, v3, v1
	v_mul_f32_e32 v1, v2, v1
	s_delay_alu instid0(VALU_DEP_2) | instskip(NEXT) | instid1(VALU_DEP_2)
	v_fmac_f32_e32 v4, v2, v0
	v_fma_f32 v2, v0, v3, -v1
	s_delay_alu instid0(VALU_DEP_2) | instskip(NEXT) | instid1(VALU_DEP_2)
	v_cvt_f64_f32_e32 v[0:1], v4
	v_cvt_f64_f32_e32 v[2:3], v2
	v_mad_co_u64_u32 v[4:5], null, s4, v91, 0
	s_delay_alu instid0(VALU_DEP_3) | instskip(NEXT) | instid1(VALU_DEP_3)
	v_mul_f64_e32 v[0:1], s[0:1], v[0:1]
	v_mul_f64_e32 v[2:3], s[0:1], v[2:3]
	s_delay_alu instid0(VALU_DEP_2) | instskip(NEXT) | instid1(VALU_DEP_2)
	v_cvt_f32_f64_e32 v0, v[0:1]
	v_cvt_f32_f64_e32 v1, v[2:3]
	v_mov_b32_e32 v2, v5
	s_delay_alu instid0(VALU_DEP_1) | instskip(NEXT) | instid1(VALU_DEP_1)
	v_mad_co_u64_u32 v[2:3], null, s5, v91, v[2:3]
	v_mov_b32_e32 v5, v2
	s_delay_alu instid0(VALU_DEP_1) | instskip(NEXT) | instid1(VALU_DEP_1)
	v_lshlrev_b64_e32 v[2:3], 3, v[4:5]
	v_add_co_u32 v2, vcc_lo, v10, v2
	s_wait_alu 0xfffd
	s_delay_alu instid0(VALU_DEP_2)
	v_add_co_ci_u32_e32 v3, vcc_lo, v11, v3, vcc_lo
	global_store_b64 v[2:3], v[0:1], off
.LBB0_23:
	s_nop 0
	s_sendmsg sendmsg(MSG_DEALLOC_VGPRS)
	s_endpgm
	.section	.rodata,"a",@progbits
	.p2align	6, 0x0
	.amdhsa_kernel bluestein_single_back_len442_dim1_sp_op_CI_CI
		.amdhsa_group_segment_fixed_size 24752
		.amdhsa_private_segment_fixed_size 0
		.amdhsa_kernarg_size 104
		.amdhsa_user_sgpr_count 2
		.amdhsa_user_sgpr_dispatch_ptr 0
		.amdhsa_user_sgpr_queue_ptr 0
		.amdhsa_user_sgpr_kernarg_segment_ptr 1
		.amdhsa_user_sgpr_dispatch_id 0
		.amdhsa_user_sgpr_private_segment_size 0
		.amdhsa_wavefront_size32 1
		.amdhsa_uses_dynamic_stack 0
		.amdhsa_enable_private_segment 0
		.amdhsa_system_sgpr_workgroup_id_x 1
		.amdhsa_system_sgpr_workgroup_id_y 0
		.amdhsa_system_sgpr_workgroup_id_z 0
		.amdhsa_system_sgpr_workgroup_info 0
		.amdhsa_system_vgpr_workitem_id 0
		.amdhsa_next_free_vgpr 225
		.amdhsa_next_free_sgpr 16
		.amdhsa_reserve_vcc 1
		.amdhsa_float_round_mode_32 0
		.amdhsa_float_round_mode_16_64 0
		.amdhsa_float_denorm_mode_32 3
		.amdhsa_float_denorm_mode_16_64 3
		.amdhsa_fp16_overflow 0
		.amdhsa_workgroup_processor_mode 1
		.amdhsa_memory_ordered 1
		.amdhsa_forward_progress 0
		.amdhsa_round_robin_scheduling 0
		.amdhsa_exception_fp_ieee_invalid_op 0
		.amdhsa_exception_fp_denorm_src 0
		.amdhsa_exception_fp_ieee_div_zero 0
		.amdhsa_exception_fp_ieee_overflow 0
		.amdhsa_exception_fp_ieee_underflow 0
		.amdhsa_exception_fp_ieee_inexact 0
		.amdhsa_exception_int_div_zero 0
	.end_amdhsa_kernel
	.text
.Lfunc_end0:
	.size	bluestein_single_back_len442_dim1_sp_op_CI_CI, .Lfunc_end0-bluestein_single_back_len442_dim1_sp_op_CI_CI
                                        ; -- End function
	.section	.AMDGPU.csdata,"",@progbits
; Kernel info:
; codeLenInByte = 24260
; NumSgprs: 18
; NumVgprs: 225
; ScratchSize: 0
; MemoryBound: 0
; FloatMode: 240
; IeeeMode: 1
; LDSByteSize: 24752 bytes/workgroup (compile time only)
; SGPRBlocks: 2
; VGPRBlocks: 28
; NumSGPRsForWavesPerEU: 18
; NumVGPRsForWavesPerEU: 225
; Occupancy: 6
; WaveLimiterHint : 1
; COMPUTE_PGM_RSRC2:SCRATCH_EN: 0
; COMPUTE_PGM_RSRC2:USER_SGPR: 2
; COMPUTE_PGM_RSRC2:TRAP_HANDLER: 0
; COMPUTE_PGM_RSRC2:TGID_X_EN: 1
; COMPUTE_PGM_RSRC2:TGID_Y_EN: 0
; COMPUTE_PGM_RSRC2:TGID_Z_EN: 0
; COMPUTE_PGM_RSRC2:TIDIG_COMP_CNT: 0
	.text
	.p2alignl 7, 3214868480
	.fill 96, 4, 3214868480
	.type	__hip_cuid_29656e5c8d88595d,@object ; @__hip_cuid_29656e5c8d88595d
	.section	.bss,"aw",@nobits
	.globl	__hip_cuid_29656e5c8d88595d
__hip_cuid_29656e5c8d88595d:
	.byte	0                               ; 0x0
	.size	__hip_cuid_29656e5c8d88595d, 1

	.ident	"AMD clang version 19.0.0git (https://github.com/RadeonOpenCompute/llvm-project roc-6.4.0 25133 c7fe45cf4b819c5991fe208aaa96edf142730f1d)"
	.section	".note.GNU-stack","",@progbits
	.addrsig
	.addrsig_sym __hip_cuid_29656e5c8d88595d
	.amdgpu_metadata
---
amdhsa.kernels:
  - .args:
      - .actual_access:  read_only
        .address_space:  global
        .offset:         0
        .size:           8
        .value_kind:     global_buffer
      - .actual_access:  read_only
        .address_space:  global
        .offset:         8
        .size:           8
        .value_kind:     global_buffer
      - .actual_access:  read_only
        .address_space:  global
        .offset:         16
        .size:           8
        .value_kind:     global_buffer
      - .actual_access:  read_only
        .address_space:  global
        .offset:         24
        .size:           8
        .value_kind:     global_buffer
      - .actual_access:  read_only
        .address_space:  global
        .offset:         32
        .size:           8
        .value_kind:     global_buffer
      - .offset:         40
        .size:           8
        .value_kind:     by_value
      - .address_space:  global
        .offset:         48
        .size:           8
        .value_kind:     global_buffer
      - .address_space:  global
        .offset:         56
        .size:           8
        .value_kind:     global_buffer
      - .address_space:  global
        .offset:         64
        .size:           8
        .value_kind:     global_buffer
      - .address_space:  global
        .offset:         72
        .size:           8
        .value_kind:     global_buffer
      - .offset:         80
        .size:           4
        .value_kind:     by_value
      - .address_space:  global
        .offset:         88
        .size:           8
        .value_kind:     global_buffer
      - .address_space:  global
        .offset:         96
        .size:           8
        .value_kind:     global_buffer
    .group_segment_fixed_size: 24752
    .kernarg_segment_align: 8
    .kernarg_segment_size: 104
    .language:       OpenCL C
    .language_version:
      - 2
      - 0
    .max_flat_workgroup_size: 238
    .name:           bluestein_single_back_len442_dim1_sp_op_CI_CI
    .private_segment_fixed_size: 0
    .sgpr_count:     18
    .sgpr_spill_count: 0
    .symbol:         bluestein_single_back_len442_dim1_sp_op_CI_CI.kd
    .uniform_work_group_size: 1
    .uses_dynamic_stack: false
    .vgpr_count:     225
    .vgpr_spill_count: 0
    .wavefront_size: 32
    .workgroup_processor_mode: 1
amdhsa.target:   amdgcn-amd-amdhsa--gfx1201
amdhsa.version:
  - 1
  - 2
...

	.end_amdgpu_metadata
